;; amdgpu-corpus repo=LLNL/RAJAPerf kind=compiled arch=gfx1030 opt=O3
	.amdgcn_target "amdgcn-amd-amdhsa--gfx1030"
	.amdhsa_code_object_version 6
	.section	.text._ZN8rajaperf4apps16intsc_hexhex_hipILm64EEEvPdS2_mS2_,"axG",@progbits,_ZN8rajaperf4apps16intsc_hexhex_hipILm64EEEvPdS2_mS2_,comdat
	.protected	_ZN8rajaperf4apps16intsc_hexhex_hipILm64EEEvPdS2_mS2_ ; -- Begin function _ZN8rajaperf4apps16intsc_hexhex_hipILm64EEEvPdS2_mS2_
	.globl	_ZN8rajaperf4apps16intsc_hexhex_hipILm64EEEvPdS2_mS2_
	.p2align	8
	.type	_ZN8rajaperf4apps16intsc_hexhex_hipILm64EEEvPdS2_mS2_,@function
_ZN8rajaperf4apps16intsc_hexhex_hipILm64EEEvPdS2_mS2_: ; @_ZN8rajaperf4apps16intsc_hexhex_hipILm64EEEvPdS2_mS2_
; %bb.0:
	s_add_u32 s0, s0, s7
	s_mov_b32 s7, 0
	s_addc_u32 s1, s1, 0
	s_lshl_b64 s[52:53], s[6:7], 6
	v_mov_b32_e32 v2, 0
	v_or_b32_e32 v3, s52, v0
	s_lshr_b32 s6, s6, 26
	s_load_dwordx8 s[44:51], s[4:5], 0x0
	v_mov_b32_e32 v19, 0
	v_mov_b32_e32 v21, 0
	v_mul_hi_u32 v1, 0x8e38e38f, v3
	v_mov_b32_e32 v17, 0
	v_mov_b32_e32 v23, 0
	;; [unrolled: 1-line block ×6, first 2 shown]
	v_mad_u64_u32 v[4:5], null, 0x8e38e38f, s6, v[1:2]
	v_mov_b32_e32 v1, v4
	v_mad_u64_u32 v[6:7], null, 0x38e38e3, v3, v[1:2]
	v_add_co_u32 v4, s4, v5, v7
	v_add_co_ci_u32_e64 v5, null, 0, 0, s4
	v_mad_u64_u32 v[57:58], null, 0x38e38e3, s6, v[4:5]
	v_mov_b32_e32 v4, s53
	s_waitcnt lgkmcnt(0)
	v_cmp_gt_u64_e32 vcc_lo, s[48:49], v[57:58]
	s_and_saveexec_b32 s48, vcc_lo
	s_cbranch_execz .LBB0_121
; %bb.1:
	v_mul_hi_u32 v1, 0xaaaaaaab, v3
	v_mul_lo_u32 v13, 0xc0, v58
	v_mov_b32_e32 v135, -1
	v_mov_b32_e32 v138, -1
	;; [unrolled: 1-line block ×4, first 2 shown]
	v_mov_b32_e32 v85, 5
	v_mov_b32_e32 v86, 6
	v_mad_u64_u32 v[5:6], null, 0xaaaaaaab, v4, v[1:2]
	v_mov_b32_e32 v87, 7
	v_mov_b32_e32 v88, 8
	;; [unrolled: 1-line block ×3, first 2 shown]
                                        ; implicit-def: $sgpr12
	v_mov_b32_e32 v1, v5
	v_mad_u64_u32 v[7:8], null, 0x2aaaaaaa, v3, v[1:2]
	v_add_co_u32 v5, s4, v6, v8
	v_add_co_ci_u32_e64 v6, null, 0, 0, s4
	s_getpc_b64 s[4:5]
	s_add_u32 s4, s4, __const._ZN8rajaperf14hex_intsc_subzEPKdS1_iiRdS2_S2_S2_.vert_cyc@rel32@lo+4
	s_addc_u32 s5, s5, __const._ZN8rajaperf14hex_intsc_subzEPKdS1_iiRdS2_S2_S2_.vert_cyc@rel32@hi+12
	v_mad_u64_u32 v[5:6], null, 0x2aaaaaaa, v4, v[5:6]
	v_mad_u64_u32 v[7:8], null, v5, 6, 0
	v_mov_b32_e32 v1, v8
	v_sub_co_u32 v3, vcc_lo, v3, v7
	v_mad_u64_u32 v[8:9], null, v6, 6, v[1:2]
	v_sub_co_ci_u32_e64 v4, null, v4, v8, vcc_lo
	v_lshlrev_b64 v[7:8], 2, v[3:4]
	v_add_co_u32 v9, vcc_lo, s4, v7
	v_add_co_ci_u32_e64 v10, null, s5, v8, vcc_lo
	v_cmp_gt_u64_e32 vcc_lo, 5, v[3:4]
	global_load_dword v3, v[9:10], off
	v_cndmask_b32_e64 v4, 0xffffffec, 4, vcc_lo
	v_cndmask_b32_e64 v1, -1, 0, vcc_lo
	v_add_co_u32 v4, vcc_lo, s4, v4
	v_add_co_ci_u32_e64 v1, null, s5, v1, vcc_lo
	v_add_co_u32 v7, vcc_lo, v4, v7
	v_add_co_ci_u32_e64 v8, null, v1, v8, vcc_lo
	v_mul_hi_u32 v1, 0x55555556, v5
	global_load_dword v7, v[7:8], off
	v_mad_u64_u32 v[8:9], null, 0x55555556, v6, v[1:2]
	v_mov_b32_e32 v1, v8
	v_mad_u64_u32 v[10:11], null, 0x15555555, v5, v[1:2]
	v_add_co_u32 v8, s4, v9, v11
	v_add_co_ci_u32_e64 v9, null, 0, 0, s4
	s_getpc_b64 s[4:5]
	s_add_u32 s4, s4, __const._ZN8rajaperf14hex_intsc_subzEPKdS1_iiRdS2_S2_S2_.cyc_nod@rel32@lo+8
	s_addc_u32 s5, s5, __const._ZN8rajaperf14hex_intsc_subzEPKdS1_iiRdS2_S2_S2_.cyc_nod@rel32@hi+16
	s_getpc_b64 s[8:9]
	s_add_u32 s8, s8, __const._ZN8rajaperf14hex_intsc_subzEPKdS1_iiRdS2_S2_S2_.cyc_nod@rel32@lo+48
	s_addc_u32 s9, s9, __const._ZN8rajaperf14hex_intsc_subzEPKdS1_iiRdS2_S2_S2_.cyc_nod@rel32@hi+56
	v_mad_u64_u32 v[8:9], null, 0x15555555, v6, v[8:9]
	v_mad_u64_u32 v[10:11], null, v8, 12, 0
	v_mov_b32_e32 v1, v11
	v_sub_co_u32 v4, vcc_lo, v5, v10
	v_mad_u64_u32 v[8:9], null, v9, 12, v[1:2]
	v_lshlrev_b32_e32 v1, 2, v4
	v_sub_nc_u32_e32 v11, 12, v4
	v_sub_co_ci_u32_e64 v5, null, v6, v8, vcc_lo
	v_add_co_u32 v8, s4, s4, v1
	v_add_co_ci_u32_e64 v9, null, s5, 0, s4
	v_sub_co_u32 v1, s4, s8, v1
	v_cmp_gt_u64_e32 vcc_lo, 6, v[4:5]
	v_sub_co_ci_u32_e64 v10, null, s9, 0, s4
	v_mad_u64_u32 v[5:6], null, 0xc0, v57, s[46:47]
	s_getpc_b64 s[4:5]
	s_add_u32 s4, s4, __const._ZN8rajaperf14hex_intsc_subzEPKdS1_iiRdS2_S2_S2_.cyc_nod@rel32@lo+4
	s_addc_u32 s5, s5, __const._ZN8rajaperf14hex_intsc_subzEPKdS1_iiRdS2_S2_S2_.cyc_nod@rel32@hi+12
	v_cndmask_b32_e32 v9, v10, v9, vcc_lo
	v_cndmask_b32_e32 v10, v11, v4, vcc_lo
	;; [unrolled: 1-line block ×3, first 2 shown]
	v_cndmask_b32_e64 v1, 56, 0, vcc_lo
	v_add_nc_u32_e32 v6, v13, v6
	v_lshlrev_b32_e32 v10, 2, v10
	global_load_dword v10, v10, s[4:5]
	s_waitcnt vmcnt(2)
	v_ashrrev_i32_e32 v4, 31, v3
	v_lshlrev_b64 v[3:4], 3, v[3:4]
	v_add_co_u32 v3, s4, v5, v3
	v_add_co_ci_u32_e64 v4, null, v6, v4, s4
	s_clause 0x1
	global_load_dwordx4 v[49:52], v[5:6], off offset:56
	global_load_dwordx4 v[53:56], v[5:6], off offset:120
	global_load_dword v12, v[8:9], off
	s_clause 0x1
	global_load_dwordx2 v[59:60], v[5:6], off
	global_load_dwordx2 v[14:15], v[3:4], off
	s_waitcnt vmcnt(6)
	v_ashrrev_i32_e32 v8, 31, v7
	v_lshlrev_b64 v[7:8], 3, v[7:8]
	v_add_co_u32 v7, s4, v5, v7
	v_add_co_ci_u32_e64 v8, null, v6, v8, s4
	s_mov_b32 s4, 0xe48e0530
	s_clause 0x5
	global_load_dwordx2 v[16:17], v[7:8], off offset:64
	global_load_dwordx2 v[18:19], v[7:8], off offset:128
	;; [unrolled: 1-line block ×3, first 2 shown]
	global_load_dwordx2 v[7:8], v[7:8], off
	global_load_dwordx2 v[20:21], v[3:4], off offset:64
	global_load_dwordx2 v[22:23], v[3:4], off offset:128
	v_mad_u64_u32 v[3:4], null, 0xc0, v57, s[44:45]
	s_mov_b32 s5, 0x2b2bff2e
	v_add_nc_u32_e32 v4, v13, v4
	v_add_co_u32 v24, vcc_lo, v3, v1
	v_mov_b32_e32 v1, 1
	v_add_co_ci_u32_e64 v25, null, 0, v4, vcc_lo
	s_waitcnt vmcnt(11)
	v_ashrrev_i32_e32 v11, 31, v10
	v_lshlrev_b64 v[9:10], 3, v[10:11]
	v_add_co_u32 v9, vcc_lo, v3, v9
	v_add_co_ci_u32_e64 v10, null, v4, v10, vcc_lo
	s_waitcnt vmcnt(9)
	v_add_f64 v[53:54], v[53:54], -v[51:52]
	s_waitcnt vmcnt(8)
	v_ashrrev_i32_e32 v13, 31, v12
	s_waitcnt vmcnt(7)
	v_add_f64 v[71:72], v[49:50], -v[59:60]
	s_waitcnt vmcnt(6)
	v_add_f64 v[61:62], v[14:15], -v[59:60]
	global_load_dwordx2 v[14:15], v[24:25], off offset:64
	v_mov_b32_e32 v50, 4
	v_lshlrev_b64 v[11:12], 3, v[12:13]
	v_add_co_u32 v11, vcc_lo, v3, v11
	v_add_co_ci_u32_e64 v12, null, v4, v12, vcc_lo
	s_clause 0x1
	global_load_dwordx2 v[26:27], v[9:10], off offset:64
	global_load_dwordx2 v[28:29], v[11:12], off offset:64
	s_waitcnt vmcnt(8)
	v_add_f64 v[63:64], v[16:17], -v[51:52]
	s_waitcnt vmcnt(7)
	v_add_f64 v[65:66], v[18:19], -v[55:56]
	s_clause 0x2
	global_load_dwordx2 v[16:17], v[24:25], off
	global_load_dwordx2 v[18:19], v[9:10], off
	;; [unrolled: 1-line block ×3, first 2 shown]
	s_waitcnt vmcnt(9)
	v_add_f64 v[67:68], v[5:6], -v[55:56]
	v_mul_f64 v[30:31], v[61:62], v[53:54]
	s_waitcnt vmcnt(8)
	v_add_f64 v[69:70], v[7:8], -v[59:60]
	s_clause 0x2
	global_load_dwordx2 v[7:8], v[24:25], off offset:128
	global_load_dwordx2 v[34:35], v[9:10], off offset:128
	global_load_dwordx2 v[36:37], v[11:12], off offset:128
	s_waitcnt vmcnt(10)
	v_add_f64 v[77:78], v[20:21], -v[51:52]
	s_waitcnt vmcnt(9)
	v_add_f64 v[75:76], v[22:23], -v[55:56]
	v_mul_f64 v[3:4], v[61:62], v[63:64]
	v_mul_f64 v[38:39], v[63:64], v[71:72]
	v_mul_f64 v[44:45], v[65:66], v[53:54]
	v_mul_f64 v[5:6], v[65:66], v[30:31]
	v_mul_f64 v[11:12], v[69:70], v[53:54]
	v_mul_f64 v[24:25], v[69:70], v[67:68]
	v_mul_f64 v[9:10], v[77:78], v[69:70]
	v_fma_f64 v[44:45], v[63:64], v[67:68], -v[44:45]
	v_fma_f64 v[5:6], v[3:4], v[67:68], -v[5:6]
	;; [unrolled: 1-line block ×3, first 2 shown]
	v_fma_f64 v[5:6], v[75:76], v[11:12], v[5:6]
	v_mul_f64 v[11:12], v[77:78], v[71:72]
	v_fma_f64 v[5:6], -v[9:10], v[67:68], v[5:6]
	v_fma_f64 v[5:6], v[65:66], v[11:12], v[5:6]
	v_fma_f64 v[73:74], -v[75:76], v[38:39], v[5:6]
	v_fma_f64 v[5:6], v[73:74], v[73:74], s[4:5]
	v_div_scale_f64 v[11:12], null, v[5:6], v[5:6], v[73:74]
	v_div_scale_f64 v[40:41], vcc_lo, v[73:74], v[5:6], v[73:74]
	v_rcp_f64_e32 v[20:21], v[11:12]
	v_fma_f64 v[22:23], -v[11:12], v[20:21], 1.0
	v_fma_f64 v[20:21], v[20:21], v[22:23], v[20:21]
	v_fma_f64 v[22:23], -v[11:12], v[20:21], 1.0
	v_fma_f64 v[42:43], v[20:21], v[22:23], v[20:21]
	s_waitcnt vmcnt(8)
	v_add_f64 v[21:22], v[14:15], -v[51:52]
	v_mul_f64 v[13:14], v[75:76], v[71:72]
	v_mul_f64 v[48:49], v[40:41], v[42:43]
	s_waitcnt vmcnt(7)
	v_add_f64 v[25:26], v[26:27], -v[51:52]
	s_waitcnt vmcnt(6)
	v_add_f64 v[23:24], v[28:29], -v[51:52]
	v_mul_f64 v[27:28], v[77:78], v[67:68]
	v_fma_f64 v[29:30], v[77:78], v[71:72], -v[30:31]
	s_waitcnt vmcnt(5)
	v_add_f64 v[15:16], v[16:17], -v[59:60]
	s_waitcnt vmcnt(4)
	v_add_f64 v[17:18], v[18:19], -v[59:60]
	;; [unrolled: 2-line block ×4, first 2 shown]
	v_mul_f64 v[79:80], v[21:22], v[46:47]
	v_fma_f64 v[13:14], v[61:62], v[67:68], -v[13:14]
	v_fma_f64 v[40:41], -v[11:12], v[48:49], v[40:41]
	s_waitcnt vmcnt(1)
	v_add_f64 v[11:12], v[34:35], -v[55:56]
	v_mul_f64 v[81:82], v[25:26], v[46:47]
	v_mul_f64 v[32:33], v[23:24], v[46:47]
	v_fma_f64 v[27:28], v[75:76], v[53:54], -v[27:28]
	v_fma_f64 v[34:35], v[69:70], v[53:54], -v[38:39]
	v_fma_f64 v[46:47], v[15:16], v[44:45], v[79:80]
	v_mul_f64 v[38:39], v[21:22], v[13:14]
	v_div_fmas_f64 v[40:41], v[40:41], v[42:43], v[48:49]
	v_mul_f64 v[42:43], v[25:26], v[13:14]
	v_mul_f64 v[48:49], v[23:24], v[13:14]
	v_fma_f64 v[79:80], v[17:18], v[44:45], v[81:82]
	s_waitcnt vmcnt(0)
	v_add_f64 v[13:14], v[36:37], -v[55:56]
	v_fma_f64 v[32:33], v[19:20], v[44:45], v[32:33]
	v_fma_f64 v[44:45], v[7:8], v[34:35], v[46:47]
	;; [unrolled: 1-line block ×3, first 2 shown]
	v_div_fixup_f64 v[5:6], v[40:41], v[5:6], v[73:74]
	v_fma_f64 v[38:39], v[17:18], v[27:28], v[42:43]
	v_fma_f64 v[27:28], v[19:20], v[27:28], v[48:49]
	;; [unrolled: 1-line block ×5, first 2 shown]
	v_fma_f64 v[42:43], -v[44:45], v[5:6], 1.0
	v_fma_f64 v[46:47], v[11:12], v[29:30], v[38:39]
	v_fma_f64 v[29:30], v[13:14], v[29:30], v[27:28]
	v_fma_f64 v[27:28], -v[40:41], v[5:6], 1.0
	v_mul_f64 v[83:84], v[44:45], v[5:6]
	v_fma_f64 v[48:49], -v[31:32], v[5:6], 1.0
	v_mul_f64 v[81:82], v[40:41], v[5:6]
	v_mul_f64 v[79:80], v[31:32], v[5:6]
	v_mov_b32_e32 v39, 2
	v_mul_f64 v[33:34], v[35:36], v[5:6]
	v_fma_f64 v[109:110], -v[35:36], v[5:6], v[42:43]
	v_mul_f64 v[35:36], v[46:47], v[5:6]
	v_mul_f64 v[37:38], v[29:30], v[5:6]
	v_fma_f64 v[27:28], -v[46:47], v[5:6], v[27:28]
	buffer_store_dword v1, off, s[0:3], 0 offset:40
	buffer_store_dword v39, off, s[0:3], 0 offset:44
	;; [unrolled: 1-line block ×11, first 2 shown]
	buffer_store_dword v109, off, s[0:3], 0
	v_fma_f64 v[29:30], -v[29:30], v[5:6], v[48:49]
	buffer_store_dword v28, off, s[0:3], 0 offset:12
	buffer_store_dword v27, off, s[0:3], 0 offset:8
	;; [unrolled: 1-line block ×4, first 2 shown]
	v_mov_b32_e32 v31, v109
	v_mov_b32_e32 v32, v110
	s_inst_prefetch 0x1
	.p2align	6
.LBB0_2:                                ; =>This Inner Loop Header: Depth=1
	v_lshl_add_u32 v1, v2, 2, 0
	v_cmp_le_f64_e32 vcc_lo, 0, v[31:32]
	v_cmp_gt_f64_e64 s5, 0, v[31:32]
	v_mov_b32_e32 v136, v137
	buffer_load_dword v1, v1, s[0:3], 0 offen offset:40
	s_waitcnt vmcnt(0)
	v_max_i32_e32 v41, 0, v1
	v_cmp_gt_i32_e64 s8, 0, v1
	v_lshl_add_u32 v40, v41, 3, 0
	s_clause 0x1
	buffer_load_dword v39, v40, s[0:3], 0 offen
	buffer_load_dword v40, v40, s[0:3], 0 offen offset:4
	s_waitcnt vmcnt(0)
	v_cmp_gt_f64_e64 s4, 0, v[39:40]
	v_cmp_le_f64_e64 s6, 0, v[39:40]
	v_mov_b32_e32 v31, v39
	v_mov_b32_e32 v32, v40
	s_and_b32 vcc_lo, vcc_lo, s4
	s_and_b32 s4, s5, s6
	v_cndmask_b32_e32 v140, v140, v41, vcc_lo
	v_cndmask_b32_e64 v137, v136, v41, s4
	s_or_b32 s7, s8, s7
	v_cndmask_b32_e32 v135, v135, v2, vcc_lo
	v_cndmask_b32_e64 v138, v138, v2, s4
	v_mov_b32_e32 v2, v1
	s_andn2_b32 s4, s12, exec_lo
	s_and_b32 s5, s5, exec_lo
	s_or_b32 s12, s4, s5
	s_andn2_b32 exec_lo, exec_lo, s7
	s_cbranch_execnz .LBB0_2
; %bb.3:
	s_inst_prefetch 0x2
	s_or_b32 exec_lo, exec_lo, s7
	v_mul_f64 v[1:2], v[61:62], v[65:66]
	v_mul_f64 v[31:32], v[75:76], v[63:64]
	v_add_f64 v[3:4], v[3:4], -v[9:10]
	v_mov_b32_e32 v39, 0
	v_cmp_lt_i32_e64 s4, -1, v135
	v_mov_b32_e32 v139, -1
	v_mov_b32_e32 v141, -1
	v_mov_b32_e32 v40, v39
	v_mov_b32_e32 v41, v39
	;; [unrolled: 1-line block ×14, first 2 shown]
	v_fma_f64 v[1:2], v[75:76], v[69:70], -v[1:2]
	v_fma_f64 v[31:32], v[77:78], v[65:66], -v[31:32]
	v_mov_b32_e32 v104, v39
	v_mov_b32_e32 v119, v39
	;; [unrolled: 1-line block ×20, first 2 shown]
	v_mul_f64 v[21:22], v[21:22], v[1:2]
	v_mul_f64 v[25:26], v[25:26], v[1:2]
	v_mul_f64 v[1:2], v[23:24], v[1:2]
	v_mov_b32_e32 v129, v39
	v_mov_b32_e32 v91, v39
	;; [unrolled: 1-line block ×13, first 2 shown]
	v_fma_f64 v[9:10], v[15:16], v[31:32], v[21:22]
	v_fma_f64 v[15:16], v[17:18], v[31:32], v[25:26]
	;; [unrolled: 1-line block ×6, first 2 shown]
	v_mul_f64 v[89:90], v[7:8], v[5:6]
	v_mul_f64 v[87:88], v[9:10], v[5:6]
	;; [unrolled: 1-line block ×3, first 2 shown]
	v_fma_f64 v[97:98], -v[7:8], v[5:6], v[109:110]
	v_fma_f64 v[99:100], -v[9:10], v[5:6], v[27:28]
	;; [unrolled: 1-line block ×3, first 2 shown]
	v_mov_b32_e32 v1, v33
	v_mov_b32_e32 v19, v51
	v_mov_b32_e32 v2, v34
	v_mov_b32_e32 v3, v35
	v_mov_b32_e32 v4, v36
	v_mov_b32_e32 v5, v37
	v_mov_b32_e32 v6, v38
	v_mov_b32_e32 v7, v39
	v_mov_b32_e32 v8, v40
	v_mov_b32_e32 v9, v41
	v_mov_b32_e32 v10, v42
	v_mov_b32_e32 v11, v43
	v_mov_b32_e32 v12, v44
	v_mov_b32_e32 v13, v45
	v_mov_b32_e32 v14, v46
	v_mov_b32_e32 v15, v47
	v_mov_b32_e32 v16, v48
	v_mov_b32_e32 v17, v49
	v_mov_b32_e32 v18, v50
	v_mov_b32_e32 v19, -1
	v_mov_b32_e32 v20, v52
	v_mov_b32_e32 v21, v53
	;; [unrolled: 1-line block ×13, first 2 shown]
	s_and_saveexec_b32 s13, s4
	s_cbranch_execz .LBB0_5
; %bb.4:
	v_lshl_add_u32 v2, v140, 3, 0
	v_lshl_add_u32 v4, v135, 3, 0
	;; [unrolled: 1-line block ×4, first 2 shown]
	v_cmp_eq_u32_e64 s5, 1, v135
	s_clause 0x7
	buffer_load_dword v1, v2, s[0:3], 0 offen
	buffer_load_dword v2, v2, s[0:3], 0 offen offset:4
	buffer_load_dword v3, v4, s[0:3], 0 offen
	buffer_load_dword v4, v4, s[0:3], 0 offen offset:4
	;; [unrolled: 2-line block ×4, first 2 shown]
	v_cmp_eq_u32_e64 s6, 1, v140
	v_cndmask_b32_e64 v29, v84, v82, s5
	v_cmp_eq_u32_e64 s8, 2, v135
	v_cmp_eq_u32_e64 s9, 2, v140
	v_cmp_eq_u32_e32 vcc_lo, 1, v137
	v_cndmask_b32_e64 v31, v84, v82, s6
	v_cmp_eq_u32_e64 s7, 1, v138
	v_cndmask_b32_e64 v44, v29, v80, s8
	v_cndmask_b32_e64 v45, v83, v81, s5
	v_cndmask_b32_e32 v40, v84, v82, vcc_lo
	v_cndmask_b32_e64 v46, v31, v80, s9
	v_cndmask_b32_e64 v41, v84, v82, s7
	;; [unrolled: 1-line block ×15, first 2 shown]
	v_cmp_eq_u32_e64 s5, 2, v137
	v_cmp_eq_u32_e64 s6, 2, v138
	v_cndmask_b32_e32 v106, v83, v81, vcc_lo
	v_cndmask_b32_e64 v115, v83, v81, s7
	v_cndmask_b32_e32 v116, v34, v36, vcc_lo
	v_cndmask_b32_e64 v107, v40, v80, s5
	v_cndmask_b32_e64 v108, v41, v80, s6
	v_cndmask_b32_e32 v117, v33, v35, vcc_lo
	v_cndmask_b32_e32 v118, v90, v88, vcc_lo
	;; [unrolled: 1-line block ×3, first 2 shown]
	v_cndmask_b32_e64 v120, v90, v88, s7
	v_cndmask_b32_e64 v121, v89, v87, s7
	v_cndmask_b32_e32 v122, v98, v100, vcc_lo
	v_cndmask_b32_e32 v127, v97, v99, vcc_lo
	v_cndmask_b32_e64 v128, v98, v100, s7
	v_cndmask_b32_e64 v129, v97, v99, s7
	v_cmp_eq_u32_e32 vcc_lo, 3, v135
	v_mov_b32_e32 v141, 3
	v_mov_b32_e32 v19, 4
	;; [unrolled: 1-line block ×22, first 2 shown]
	buffer_store_dword v20, off, s[0:3], 0 offset:84
	s_waitcnt vmcnt(6)
	v_add_f64 v[9:10], -v[1:2], 0
	s_waitcnt vmcnt(2)
	v_add_f64 v[23:24], -v[5:6], 0
	v_add_f64 v[17:18], v[3:4], -v[1:2]
	s_waitcnt vmcnt(0)
	v_add_f64 v[7:8], v[7:8], -v[5:6]
	v_mov_b32_e32 v5, v37
	v_mov_b32_e32 v6, v38
	v_div_scale_f64 v[21:22], null, v[17:18], v[17:18], v[9:10]
	v_div_scale_f64 v[25:26], null, v[7:8], v[7:8], v[23:24]
	v_div_scale_f64 v[42:43], s10, v[9:10], v[17:18], v[9:10]
	v_rcp_f64_e32 v[1:2], v[21:22]
	v_rcp_f64_e32 v[29:30], v[25:26]
	v_fma_f64 v[3:4], -v[21:22], v[1:2], 1.0
	v_fma_f64 v[40:41], -v[25:26], v[29:30], 1.0
	v_fma_f64 v[27:28], v[1:2], v[3:4], v[1:2]
	v_mov_b32_e32 v1, v33
	v_fma_f64 v[29:30], v[29:30], v[40:41], v[29:30]
	v_mov_b32_e32 v2, v34
	v_cndmask_b32_e64 v34, v34, v36, s7
	v_cndmask_b32_e64 v33, v33, v35, s7
	v_cmp_eq_u32_e64 s7, 3, v140
	v_mov_b32_e32 v3, v35
	v_mov_b32_e32 v4, v36
	v_cndmask_b32_e64 v35, v44, 0, vcc_lo
	v_cndmask_b32_e64 v36, v45, v79, s8
	v_cndmask_b32_e64 v44, v46, 0, s7
	;; [unrolled: 1-line block ×12, first 2 shown]
	v_fma_f64 v[31:32], -v[21:22], v[27:28], 1.0
	v_cndmask_b32_e64 v38, v34, v38, s6
	v_cndmask_b32_e64 v37, v33, v37, s6
	v_fma_f64 v[33:34], -v[25:26], v[29:30], 1.0
	v_cndmask_b32_e64 v48, v92, v86, s8
	v_cndmask_b32_e64 v49, v93, v85, s8
	;; [unrolled: 1-line block ×6, first 2 shown]
	v_cmp_eq_u32_e64 s8, 4, v135
	v_cndmask_b32_e64 v36, v36, 0, vcc_lo
	v_cndmask_b32_e64 v41, v41, 0, s7
	v_cndmask_b32_e64 v40, v40, 0, vcc_lo
	v_cmp_eq_u32_e64 s9, 4, v140
	v_cndmask_b32_e64 v35, v35, 0, s8
	v_cndmask_b32_e64 v103, v106, v79, s5
	v_mov_b32_e32 v117, v39
	v_cndmask_b32_e64 v44, v44, 0, s9
	v_fma_f64 v[27:28], v[27:28], v[31:32], v[27:28]
	v_fma_f64 v[29:30], v[29:30], v[33:34], v[29:30]
	v_cndmask_b32_e64 v33, v40, 0, s8
	v_cndmask_b32_e64 v34, v41, 0, s9
	v_mul_f64 v[31:32], v[42:43], v[27:28]
	v_fma_f64 v[21:22], -v[21:22], v[31:32], v[42:43]
	v_cndmask_b32_e64 v42, v45, 0, s7
	v_cndmask_b32_e64 v43, v46, 0, vcc_lo
	v_cndmask_b32_e64 v45, v47, 0, s7
	v_cndmask_b32_e64 v46, v48, 0, vcc_lo
	v_cndmask_b32_e64 v47, v49, 0, vcc_lo
	v_cndmask_b32_e64 v48, v50, 0, s7
	v_cndmask_b32_e64 v49, v91, 0, s7
	v_cndmask_b32_e64 v50, v92, 0, vcc_lo
	v_cndmask_b32_e64 v91, v93, 0, vcc_lo
	v_cndmask_b32_e64 v92, v94, 0, s7
	v_cndmask_b32_e64 v93, v101, 0, s7
	v_cmp_eq_u32_e64 s7, 5, v135
	s_mov_b32 vcc_lo, s10
	v_cndmask_b32_e64 v101, v36, 0, s8
	v_cndmask_b32_e64 v40, v45, 0, s9
	v_cndmask_b32_e64 v41, v46, 0, s8
	v_cndmask_b32_e64 v94, v35, 0, s7
	v_div_scale_f64 v[35:36], s11, v[23:24], v[7:8], v[23:24]
	v_cndmask_b32_e64 v46, v91, 0, s8
	v_cndmask_b32_e64 v45, v50, 0, s8
	v_div_fmas_f64 v[21:22], v[21:22], v[27:28], v[31:32]
	v_cmp_eq_u32_e32 vcc_lo, 5, v140
	v_cndmask_b32_e64 v31, v42, 0, s9
	v_cndmask_b32_e64 v32, v43, 0, s8
	;; [unrolled: 1-line block ×4, first 2 shown]
	v_cndmask_b32_e64 v27, v44, 0, vcc_lo
	v_cndmask_b32_e64 v44, v49, 0, s9
	v_cndmask_b32_e64 v47, v92, 0, s9
	;; [unrolled: 1-line block ×3, first 2 shown]
	v_cmp_eq_u32_e64 s9, 6, v140
	v_cmp_eq_u32_e64 s8, 6, v135
	v_cndmask_b32_e64 v50, v101, 0, s7
	v_cndmask_b32_e64 v31, v31, 0, vcc_lo
	v_cmp_eq_u32_e64 s10, 7, v140
	v_cndmask_b32_e64 v91, v27, 0, s9
	v_cndmask_b32_e64 v49, v94, 0, s8
	v_mul_f64 v[27:28], v[35:36], v[29:30]
	v_cndmask_b32_e64 v31, v31, 0, s9
	v_div_fixup_f64 v[9:10], v[21:22], v[17:18], v[9:10]
	v_cndmask_b32_e64 v17, v32, 0, s7
	v_cndmask_b32_e64 v21, v33, 0, s7
	v_cndmask_b32_e64 v33, v40, 0, vcc_lo
	v_cndmask_b32_e64 v40, v42, 0, s7
	v_cndmask_b32_e64 v42, v44, 0, vcc_lo
	;; [unrolled: 2-line block ×3, first 2 shown]
	v_cndmask_b32_e64 v48, v50, 0, s8
	v_cndmask_b32_e64 v50, v17, 0, s8
	v_cndmask_b32_e64 v32, v34, 0, vcc_lo
	v_cndmask_b32_e64 v34, v41, 0, s7
	v_cndmask_b32_e64 v41, v43, 0, vcc_lo
	;; [unrolled: 2-line block ×3, first 2 shown]
	v_cmp_eq_u32_e64 s7, 7, v135
	v_cndmask_b32_e64 v31, v31, 0, s10
	s_mov_b32 vcc_lo, s11
	v_fma_f64 v[17:18], -v[25:26], v[27:28], v[35:36]
	v_cndmask_b32_e64 v35, v21, 0, s8
	v_cndmask_b32_e64 v47, v49, 0, s7
	;; [unrolled: 1-line block ×3, first 2 shown]
	v_add_f64 v[21:22], -v[9:10], 1.0
	v_cndmask_b32_e64 v25, v32, 0, s9
	v_cndmask_b32_e64 v32, v33, 0, s9
	;; [unrolled: 1-line block ×8, first 2 shown]
	v_cmp_eq_u32_e64 s9, 8, v140
	v_cndmask_b32_e64 v45, v25, 0, s10
	v_cndmask_b32_e64 v32, v32, 0, s10
	;; [unrolled: 1-line block ×8, first 2 shown]
	v_div_fmas_f64 v[17:18], v[17:18], v[29:30], v[27:28]
	v_cndmask_b32_e64 v27, v45, 0, s9
	v_cndmask_b32_e64 v30, v34, 0, s9
	v_cmp_eq_u32_e32 vcc_lo, 8, v135
	v_mul_f64 v[28:29], v[25:26], v[21:22]
	v_cndmask_b32_e64 v26, v32, 0, s9
	v_cndmask_b32_e64 v32, v42, 0, s10
	;; [unrolled: 1-line block ×3, first 2 shown]
	v_mul_f64 v[30:31], v[30:31], v[21:22]
	v_cndmask_b32_e64 v34, v47, 0, vcc_lo
	v_mul_f64 v[25:26], v[26:27], v[21:22]
	v_cndmask_b32_e64 v33, v32, 0, s9
	v_cndmask_b32_e64 v32, v42, 0, s9
	;; [unrolled: 1-line block ×6, first 2 shown]
	v_mul_f64 v[21:22], v[32:33], v[21:22]
	v_cndmask_b32_e64 v32, v50, 0, s7
	v_cndmask_b32_e64 v33, v42, 0, vcc_lo
	v_cndmask_b32_e64 v40, v40, 0, s7
	v_cndmask_b32_e64 v27, v27, 0, s7
	v_div_fixup_f64 v[23:24], v[17:18], v[7:8], v[23:24]
	v_cndmask_b32_e64 v8, v32, 0, vcc_lo
	v_cndmask_b32_e64 v7, v35, 0, vcc_lo
	;; [unrolled: 1-line block ×3, first 2 shown]
	v_fma_f64 v[91:92], v[33:34], v[9:10], v[28:29]
	v_cndmask_b32_e64 v28, v41, 0, s7
	v_cndmask_b32_e64 v17, v40, 0, vcc_lo
	v_cndmask_b32_e64 v29, v118, v86, s5
	v_cmp_eq_u32_e64 s7, 4, v138
	v_mov_b32_e32 v118, v39
	v_fma_f64 v[7:8], v[7:8], v[9:10], v[25:26]
	v_cndmask_b32_e64 v26, v28, 0, vcc_lo
	v_cndmask_b32_e64 v25, v27, 0, vcc_lo
	v_fma_f64 v[101:102], v[17:18], v[9:10], v[30:31]
	v_cndmask_b32_e64 v17, v119, v85, s5
	v_cndmask_b32_e64 v18, v120, v86, s6
	;; [unrolled: 1-line block ×3, first 2 shown]
	v_fma_f64 v[105:106], v[25:26], v[9:10], v[21:22]
	v_cndmask_b32_e64 v21, v122, v96, s5
	v_cndmask_b32_e64 v22, v127, v95, s5
	v_cndmask_b32_e64 v25, v128, v96, s6
	v_cndmask_b32_e64 v26, v129, v95, s6
	v_cmp_eq_u32_e32 vcc_lo, 3, v137
	v_cmp_eq_u32_e64 s5, 3, v138
	v_cmp_eq_u32_e64 s6, 4, v137
	v_add_f64 v[9:10], -v[23:24], 1.0
	v_mov_b32_e32 v119, v39
	v_cndmask_b32_e32 v28, v107, v92, vcc_lo
	v_cndmask_b32_e32 v30, v103, v91, vcc_lo
	v_cndmask_b32_e64 v31, v108, v92, s5
	v_cndmask_b32_e64 v32, v104, v91, s5
	v_mov_b32_e32 v120, v39
	v_cndmask_b32_e32 v33, v115, v8, vcc_lo
	v_cndmask_b32_e64 v35, v38, v8, s5
	v_cndmask_b32_e64 v36, v37, v7, s5
	v_cndmask_b32_e32 v17, v17, v101, vcc_lo
	v_cndmask_b32_e64 v18, v18, v102, s5
	v_cndmask_b32_e64 v27, v27, v101, s5
	v_cndmask_b32_e32 v34, v116, v7, vcc_lo
	v_cndmask_b32_e32 v21, v21, v106, vcc_lo
	;; [unrolled: 1-line block ×3, first 2 shown]
	v_cndmask_b32_e64 v25, v25, v106, s5
	v_cndmask_b32_e64 v26, v26, v105, s5
	v_cndmask_b32_e32 v29, v29, v102, vcc_lo
	v_cndmask_b32_e64 v28, v28, 0, s6
	v_cmp_eq_u32_e32 vcc_lo, 5, v137
	v_cndmask_b32_e64 v30, v30, 0, s6
	v_cndmask_b32_e64 v31, v31, 0, s7
	v_cmp_eq_u32_e64 s5, 5, v138
	v_cndmask_b32_e64 v32, v32, 0, s7
	v_cndmask_b32_e64 v33, v33, 0, s6
	;; [unrolled: 1-line block ×13, first 2 shown]
	v_cndmask_b32_e64 v28, v28, 0, vcc_lo
	v_cmp_eq_u32_e64 s6, 6, v137
	v_cndmask_b32_e64 v30, v30, 0, vcc_lo
	v_cndmask_b32_e64 v31, v31, 0, s5
	v_cmp_eq_u32_e64 s7, 6, v138
	v_cndmask_b32_e64 v32, v32, 0, s5
	v_cndmask_b32_e64 v33, v33, 0, vcc_lo
	v_cndmask_b32_e64 v35, v35, 0, s5
	v_cndmask_b32_e64 v36, v36, 0, s5
	v_cndmask_b32_e64 v17, v17, 0, vcc_lo
	v_cndmask_b32_e64 v18, v18, 0, s5
	v_cndmask_b32_e64 v27, v27, 0, s5
	v_cndmask_b32_e64 v21, v21, 0, vcc_lo
	v_cndmask_b32_e64 v37, v22, 0, vcc_lo
	v_cndmask_b32_e64 v22, v25, 0, s5
	v_cndmask_b32_e64 v25, v26, 0, s5
	v_cndmask_b32_e64 v34, v34, 0, vcc_lo
	v_cndmask_b32_e64 v29, v29, 0, vcc_lo
	v_cndmask_b32_e64 v38, v28, 0, s6
	v_cndmask_b32_e64 v40, v30, 0, s6
	;; [unrolled: 1-line block ×3, first 2 shown]
	v_cmp_eq_u32_e64 s5, 7, v138
	v_cndmask_b32_e64 v28, v32, 0, s7
	v_cndmask_b32_e64 v31, v33, 0, s6
	v_cndmask_b32_e64 v30, v35, 0, s7
	v_cndmask_b32_e64 v33, v36, 0, s7
	v_cndmask_b32_e64 v35, v17, 0, s6
	v_cndmask_b32_e64 v17, v18, 0, s7
	v_cndmask_b32_e64 v18, v27, 0, s7
	v_cndmask_b32_e64 v36, v21, 0, s6
	v_cndmask_b32_e64 v21, v22, 0, s7
	v_cndmask_b32_e64 v22, v25, 0, s7
	v_cndmask_b32_e64 v32, v34, 0, s6
	v_cndmask_b32_e64 v34, v29, 0, s6
	v_cndmask_b32_e64 v25, v26, 0, s5
	v_cmp_eq_u32_e64 s7, 8, v138
	v_cndmask_b32_e64 v26, v28, 0, s5
	v_cndmask_b32_e64 v27, v30, 0, s5
	;; [unrolled: 1-line block ×15, first 2 shown]
	v_mul_f64 v[29:30], v[9:10], v[17:18]
	v_mul_f64 v[21:22], v[9:10], v[21:22]
	;; [unrolled: 1-line block ×3, first 2 shown]
	v_cmp_eq_u32_e32 vcc_lo, 7, v137
	v_mul_f64 v[27:28], v[9:10], v[27:28]
	v_cndmask_b32_e64 v33, v37, 0, s6
	v_cmp_eq_u32_e64 s5, 8, v137
	v_mov_b32_e32 v115, v39
	v_cndmask_b32_e64 v9, v38, 0, vcc_lo
	v_cndmask_b32_e64 v17, v40, 0, vcc_lo
	;; [unrolled: 1-line block ×8, first 2 shown]
	v_cndmask_b32_e64 v10, v9, 0, s5
	v_cndmask_b32_e64 v9, v17, 0, s5
	;; [unrolled: 1-line block ×8, first 2 shown]
	v_fma_f64 v[93:94], v[23:24], v[9:10], v[29:30]
	v_fma_f64 v[9:10], v[23:24], v[31:32], v[21:22]
	;; [unrolled: 1-line block ×3, first 2 shown]
	v_mov_b32_e32 v17, v39
	v_fma_f64 v[107:108], v[23:24], v[35:36], v[27:28]
	v_mov_b32_e32 v18, v39
	v_mov_b32_e32 v121, v39
	;; [unrolled: 1-line block ×7, first 2 shown]
.LBB0_5:
	s_or_b32 exec_lo, exec_lo, s13
	s_mov_b32 s5, 0
	buffer_store_dword v139, off, s[0:3], 0 offset:80
	s_branch .LBB0_7
.LBB0_6:                                ;   in Loop: Header=BB0_7 Depth=1
	s_or_b32 exec_lo, exec_lo, s7
	s_waitcnt vmcnt(0)
	v_cmp_gt_i32_e32 vcc_lo, 0, v20
	v_mov_b32_e32 v39, v20
	s_or_b32 s5, vcc_lo, s5
	s_andn2_b32 exec_lo, exec_lo, s5
	s_cbranch_execz .LBB0_13
.LBB0_7:                                ; =>This Inner Loop Header: Depth=1
	v_lshlrev_b32_e32 v20, 2, v39
	s_mov_b32 s6, 0
	s_mov_b32 s7, exec_lo
	v_mov_b32_e32 v21, v20
	v_add_nc_u32_e32 v20, v21, v20
	s_clause 0x2
	buffer_load_dword v22, v20, s[0:3], 0 offen
	buffer_load_dword v23, v20, s[0:3], 0 offen offset:4
	buffer_load_dword v20, v21, s[0:3], 0 offen offset:40
	s_waitcnt vmcnt(1)
	v_cmpx_ngt_f64_e32 0, v[22:23]
	s_xor_b32 s7, exec_lo, s7
	s_cbranch_execnz .LBB0_10
; %bb.8:                                ;   in Loop: Header=BB0_7 Depth=1
	s_or_saveexec_b32 s7, s7
	v_mov_b32_e32 v22, 0x50
	s_xor_b32 exec_lo, exec_lo, s7
	s_cbranch_execnz .LBB0_11
.LBB0_9:                                ;   in Loop: Header=BB0_7 Depth=1
	s_or_b32 exec_lo, exec_lo, s7
	s_and_saveexec_b32 s7, s6
	s_cbranch_execz .LBB0_6
	s_branch .LBB0_12
.LBB0_10:                               ;   in Loop: Header=BB0_7 Depth=1
	buffer_load_dword v21, off, s[0:3], 0 offset:80
	s_waitcnt vmcnt(0)
	v_cmp_eq_u32_e32 vcc_lo, -1, v21
                                        ; implicit-def: $vgpr21
	s_and_b32 s6, vcc_lo, exec_lo
	s_or_saveexec_b32 s7, s7
	v_mov_b32_e32 v22, 0x50
	s_xor_b32 exec_lo, exec_lo, s7
	s_cbranch_execz .LBB0_9
.LBB0_11:                               ;   in Loop: Header=BB0_7 Depth=1
	buffer_load_dword v23, off, s[0:3], 0 offset:84
	v_mov_b32_e32 v22, 0x54
	s_or_b32 s6, s6, exec_lo
	s_waitcnt vmcnt(0)
	buffer_store_dword v23, v21, s[0:3], 0 offen offset:40
	s_or_b32 exec_lo, exec_lo, s7
	s_and_saveexec_b32 s7, s6
	s_cbranch_execz .LBB0_6
.LBB0_12:                               ;   in Loop: Header=BB0_7 Depth=1
	buffer_store_dword v39, v22, s[0:3], 0 offen
	s_branch .LBB0_6
.LBB0_13:
	s_or_b32 exec_lo, exec_lo, s5
	s_and_saveexec_b32 s5, s4
	s_cbranch_execz .LBB0_15
; %bb.14:
	v_cmp_gt_f64_e32 vcc_lo, 0, v[109:110]
	v_lshl_add_u32 v20, v135, 2, 0
	v_lshl_add_u32 v21, v141, 2, 0
	;; [unrolled: 1-line block ×3, first 2 shown]
	s_or_b32 s4, s12, vcc_lo
	v_cndmask_b32_e64 v22, v136, -1, s4
	buffer_store_dword v141, v20, s[0:3], 0 offen offset:40
	buffer_store_dword v19, v21, s[0:3], 0 offen offset:40
	;; [unrolled: 1-line block ×3, first 2 shown]
.LBB0_15:
	s_or_b32 exec_lo, exec_lo, s5
	buffer_load_dword v25, off, s[0:3], 0 offset:80
	v_mov_b32_e32 v26, -1
	v_mov_b32_e32 v27, -1
	;; [unrolled: 1-line block ×4, first 2 shown]
	s_mov_b32 s49, 0
	v_mov_b32_e32 v22, -1
	v_mov_b32_e32 v23, -1
	s_waitcnt vmcnt(0)
	v_cmp_eq_u32_e32 vcc_lo, 1, v25
	v_cmp_eq_u32_e64 s4, 7, v25
	v_cndmask_b32_e32 v19, v84, v82, vcc_lo
	v_cndmask_b32_e32 v20, v83, v81, vcc_lo
	v_cmp_eq_u32_e32 vcc_lo, 2, v25
	v_cndmask_b32_e32 v19, v19, v80, vcc_lo
	v_cndmask_b32_e32 v20, v20, v79, vcc_lo
	v_cmp_eq_u32_e32 vcc_lo, 3, v25
	;; [unrolled: 3-line block ×6, first 2 shown]
	v_cndmask_b32_e64 v19, v19, v112, s4
	v_cndmask_b32_e64 v24, v20, v124, s4
	v_cmp_lt_i32_e64 s4, -1, v25
	v_cndmask_b32_e32 v20, v19, v111, vcc_lo
	v_cndmask_b32_e32 v19, v24, v123, vcc_lo
	s_and_saveexec_b32 s9, s4
	s_cbranch_execz .LBB0_19
; %bb.16:
	v_mov_b32_e32 v24, v20
	v_mov_b32_e32 v26, -1
	v_mov_b32_e32 v28, v25
	v_mov_b32_e32 v21, -1
	v_mov_b32_e32 v22, -1
	;; [unrolled: 1-line block ×3, first 2 shown]
	v_mov_b32_e32 v23, v19
	s_mov_b32 s10, 0
                                        ; implicit-def: $sgpr11
.LBB0_17:                               ; =>This Inner Loop Header: Depth=1
	v_lshl_add_u32 v29, v28, 2, 0
	v_cmp_gt_f64_e64 s7, 0, v[23:24]
	buffer_load_dword v31, v29, s[0:3], 0 offen offset:40
	s_waitcnt vmcnt(0)
	v_cmp_gt_i32_e32 vcc_lo, 0, v31
	v_cndmask_b32_e32 v32, v31, v25, vcc_lo
	v_cmp_eq_u32_e64 s5, 1, v32
	v_cndmask_b32_e64 v29, v84, v82, s5
	v_cndmask_b32_e64 v30, v83, v81, s5
	v_cmp_eq_u32_e64 s5, 2, v32
	v_cndmask_b32_e64 v29, v29, v80, s5
	v_cndmask_b32_e64 v30, v30, v79, s5
	;; [unrolled: 3-line block ×8, first 2 shown]
	v_cmp_le_f64_e64 s5, 0, v[23:24]
	v_cmp_gt_f64_e64 s6, 0, v[29:30]
	v_cmp_le_f64_e64 s8, 0, v[29:30]
	v_mov_b32_e32 v23, v29
	v_mov_b32_e32 v24, v30
	s_and_b32 s5, s5, s6
	s_and_b32 s6, s7, s8
	v_cndmask_b32_e64 v22, v22, v32, s5
	v_cndmask_b32_e64 v27, v27, v32, s6
	s_or_b32 s10, vcc_lo, s10
	v_cndmask_b32_e64 v26, v26, v28, s5
	v_cndmask_b32_e64 v21, v21, v28, s6
	v_mov_b32_e32 v28, v31
	s_andn2_b32 s5, s11, exec_lo
	s_and_b32 s6, s7, exec_lo
	s_or_b32 s11, s5, s6
	s_andn2_b32 exec_lo, exec_lo, s10
	s_cbranch_execnz .LBB0_17
; %bb.18:
	s_or_b32 exec_lo, exec_lo, s10
	s_and_b32 s49, s11, exec_lo
.LBB0_19:
	s_or_b32 exec_lo, exec_lo, s9
	v_mov_b32_e32 v28, -1
	v_cmp_lt_i32_e64 s5, -1, v26
	v_mov_b32_e32 v23, -1
	v_mov_b32_e32 v24, -1
	s_and_saveexec_b32 s54, s5
	s_cbranch_execz .LBB0_21
; %bb.20:
	buffer_load_dword v23, off, s[0:3], 0 offset:84
	v_cmp_eq_u32_e64 s31, 1, v22
	v_cmp_eq_u32_e64 s33, 1, v26
	;; [unrolled: 1-line block ×5, first 2 shown]
	v_cndmask_b32_e64 v24, v84, v82, s31
	v_cndmask_b32_e64 v29, v83, v81, s31
	;; [unrolled: 1-line block ×4, first 2 shown]
	v_cmp_eq_u32_e64 s35, 3, v26
	v_cndmask_b32_e64 v24, v24, v80, s38
	v_cndmask_b32_e64 v29, v29, v79, s38
	;; [unrolled: 1-line block ×4, first 2 shown]
	v_cmp_eq_u32_e64 s43, 4, v22
	v_cndmask_b32_e64 v24, v24, v92, s42
	v_cndmask_b32_e64 v29, v29, v91, s42
	;; [unrolled: 1-line block ×3, first 2 shown]
	v_cmp_eq_u32_e64 s36, 4, v26
	v_cndmask_b32_e64 v31, v31, v91, s35
	v_cndmask_b32_e64 v24, v24, v94, s43
	v_cmp_eq_u32_e64 s44, 5, v22
	v_cndmask_b32_e64 v29, v29, v93, s43
	v_cndmask_b32_e64 v30, v30, v94, s36
	;; [unrolled: 3-line block ×9, first 2 shown]
	v_cndmask_b32_e64 v29, v22, v123, s47
	v_cmp_eq_u32_e64 s6, 1, v21
	v_cndmask_b32_e64 v32, v32, v111, s41
	v_cndmask_b32_e64 v31, v31, v123, s41
	v_cmp_eq_u32_e64 s7, 1, v27
	v_add_f64 v[33:34], -v[29:30], 0
	v_cmp_eq_u32_e64 s24, 2, v21
	v_cmp_eq_u32_e64 s8, 2, v27
	v_add_f64 v[35:36], v[31:32], -v[29:30]
	v_cmp_eq_u32_e64 s25, 3, v21
	v_cmp_eq_u32_e64 s18, 3, v27
	;; [unrolled: 1-line block ×12, first 2 shown]
	v_div_scale_f64 v[37:38], null, v[35:36], v[35:36], v[33:34]
	v_rcp_f64_e32 v[39:40], v[37:38]
	v_fma_f64 v[41:42], -v[37:38], v[39:40], 1.0
	v_fma_f64 v[39:40], v[39:40], v[41:42], v[39:40]
	v_fma_f64 v[41:42], -v[37:38], v[39:40], 1.0
	v_fma_f64 v[39:40], v[39:40], v[41:42], v[39:40]
	v_div_scale_f64 v[41:42], vcc_lo, v[33:34], v[35:36], v[33:34]
	v_mul_f64 v[43:44], v[41:42], v[39:40]
	v_fma_f64 v[37:38], -v[37:38], v[43:44], v[41:42]
	v_div_fmas_f64 v[37:38], v[37:38], v[39:40], v[43:44]
	v_div_fixup_f64 v[44:45], v[37:38], v[35:36], v[33:34]
	v_add_f64 v[46:47], -v[44:45], 1.0
	s_waitcnt vmcnt(0)
	v_lshl_add_u32 v22, v23, 2, 0
	v_mul_f64 v[29:30], v[29:30], v[46:47]
	v_cmp_eq_u32_e64 s10, 1, v23
	v_cmp_eq_u32_e64 s9, 0, v23
	;; [unrolled: 1-line block ×3, first 2 shown]
	buffer_load_dword v24, v22, s[0:3], 0 offen offset:40
	v_cmp_eq_u32_e64 s14, 7, v23
	v_cmp_eq_u32_e64 s12, 6, v23
	;; [unrolled: 1-line block ×6, first 2 shown]
	v_fma_f64 v[48:49], v[31:32], v[44:45], v[29:30]
	v_cndmask_b32_e64 v29, v81, v48, s10
	v_cndmask_b32_e64 v22, v83, v48, s9
	;; [unrolled: 1-line block ×59, first 2 shown]
	v_add_f64 v[81:82], -v[48:49], 0
	v_cndmask_b32_e64 v126, v98, v100, s31
	v_add_f64 v[83:84], v[79:80], -v[48:49]
	v_cndmask_b32_e64 v21, v21, v6, s38
	v_cndmask_b32_e64 v124, v124, v104, s43
	;; [unrolled: 1-line block ×9, first 2 shown]
	v_div_scale_f64 v[91:92], null, v[83:84], v[83:84], v[81:82]
	v_cndmask_b32_e64 v21, v21, v16, s46
	v_rcp_f64_e32 v[93:94], v[91:92]
	v_fma_f64 v[109:110], -v[91:92], v[93:94], 1.0
	v_fma_f64 v[93:94], v[93:94], v[109:110], v[93:94]
	v_cndmask_b32_e64 v109, v111, v9, s43
	v_cndmask_b32_e64 v110, v2, v4, s33
	v_cndmask_b32_e64 v111, v1, v3, s33
	v_cndmask_b32_e64 v109, v109, v11, s44
	v_cndmask_b32_e64 v110, v110, v6, s34
	v_cndmask_b32_e64 v111, v111, v5, s34
	v_cndmask_b32_e64 v109, v109, v13, s45
	v_cndmask_b32_e64 v112, v110, v8, s35
	v_cndmask_b32_e64 v114, v111, v7, s35
	v_cndmask_b32_e64 v113, v109, v15, s46
	v_cndmask_b32_e64 v123, v112, v10, s36
	v_cndmask_b32_e64 v112, v21, v18, s47
	v_cndmask_b32_e64 v21, v114, v9, s36
	v_cndmask_b32_e64 v111, v113, v17, s47
	v_cndmask_b32_e64 v113, v123, v12, s37
	v_fma_f64 v[109:110], -v[91:92], v[93:94], 1.0
	v_cndmask_b32_e64 v21, v21, v11, s37
	v_mul_f64 v[111:112], v[111:112], v[46:47]
	v_cndmask_b32_e64 v113, v113, v14, s39
	v_cndmask_b32_e64 v21, v21, v13, s39
	;; [unrolled: 1-line block ×7, first 2 shown]
	v_fma_f64 v[93:94], v[93:94], v[109:110], v[93:94]
	v_div_scale_f64 v[109:110], vcc_lo, v[81:82], v[83:84], v[81:82]
	v_fma_f64 v[111:112], v[113:114], v[44:45], v[111:112]
	v_cndmask_b32_e64 v114, v21, v86, s34
	v_cndmask_b32_e64 v123, v114, v102, s35
	;; [unrolled: 1-line block ×26, first 2 shown]
	s_waitcnt vmcnt(0)
	v_lshl_add_u32 v113, v24, 2, 0
	buffer_load_dword v21, v113, s[0:3], 0 offen offset:40
	v_mul_f64 v[113:114], v[109:110], v[93:94]
	v_fma_f64 v[91:92], -v[91:92], v[113:114], v[109:110]
	v_cndmask_b32_e64 v109, v123, v119, s44
	v_cndmask_b32_e64 v123, v97, v99, s31
	;; [unrolled: 1-line block ×17, first 2 shown]
	v_div_fmas_f64 v[91:92], v[91:92], v[93:94], v[113:114]
	v_cndmask_b32_e64 v113, v123, v134, s44
	v_mul_f64 v[93:94], v[109:110], v[46:47]
	v_cndmask_b32_e64 v109, v97, v99, s33
	v_cndmask_b32_e64 v110, v124, v96, s34
	;; [unrolled: 1-line block ×18, first 2 shown]
	v_mul_f64 v[46:47], v[109:110], v[46:47]
	v_div_fixup_f64 v[109:110], v[91:92], v[83:84], v[81:82]
	v_cndmask_b32_e64 v13, v13, v134, s37
	v_fma_f64 v[81:82], v[113:114], v[44:45], v[93:94]
	v_cndmask_b32_e64 v7, v123, v128, s39
	v_cmp_eq_u32_e32 vcc_lo, 8, v24
	v_cndmask_b32_e64 v13, v13, v133, s39
	v_cndmask_b32_e64 v1, v7, v130, s40
	;; [unrolled: 1-line block ×5, first 2 shown]
	v_fma_f64 v[5:6], v[13:14], v[44:45], v[46:47]
	v_cndmask_b32_e64 v44, v4, v112, s10
	v_cndmask_b32_e64 v45, v2, v112, s9
	v_add_f64 v[7:8], -v[109:110], 1.0
	v_cndmask_b32_e64 v4, v140, v139, s6
	v_cndmask_b32_e64 v13, v140, v139, s7
	;; [unrolled: 1-line block ×21, first 2 shown]
	v_mul_f64 v[1:2], v[48:49], v[7:8]
	v_cndmask_b32_e64 v48, v131, v5, s14
	v_cndmask_b32_e64 v3, v3, v12, s27
	;; [unrolled: 1-line block ×25, first 2 shown]
	v_fma_f64 v[1:2], v[79:80], v[109:110], v[1:2]
	v_cmp_eq_u32_e64 s11, 5, v24
	v_cndmask_b32_e64 v4, v3, v18, s30
	v_cndmask_b32_e64 v3, v6, v17, s30
	v_cndmask_b32_e64 v5, v5, v10, s20
	v_cndmask_b32_e64 v6, v13, v9, s20
	v_cmp_eq_u32_e64 s12, 4, v24
	v_cndmask_b32_e64 v86, v86, v82, s16
	v_mul_f64 v[3:4], v[3:4], v[7:8]
	v_cndmask_b32_e64 v5, v5, v12, s19
	v_cndmask_b32_e64 v6, v6, v11, s19
	;; [unrolled: 1-line block ×18, first 2 shown]
	v_cmp_eq_u32_e64 s9, 7, v24
	v_cmp_eq_u32_e64 s10, 6, v24
	;; [unrolled: 1-line block ×3, first 2 shown]
	v_fma_f64 v[35:36], v[5:6], v[109:110], v[3:4]
	v_cndmask_b32_e64 v3, v90, v88, s7
	v_cndmask_b32_e64 v4, v90, v88, s6
	v_cndmask_b32_e64 v5, v89, v87, s6
	v_cmp_eq_u32_e64 s14, 2, v24
	v_cmp_eq_u32_e64 s15, 1, v24
	v_cndmask_b32_e64 v3, v3, v86, s8
	v_cndmask_b32_e64 v4, v4, v86, s24
	;; [unrolled: 1-line block ×3, first 2 shown]
	v_cmp_eq_u32_e64 s16, 0, v24
	v_cndmask_b32_e64 v103, v103, v81, s17
	v_cndmask_b32_e64 v3, v3, v102, s18
	v_cndmask_b32_e32 v111, v43, v2, vcc_lo
	v_cndmask_b32_e64 v112, v41, v2, s9
	v_cndmask_b32_e64 v113, v42, v2, s10
	;; [unrolled: 1-line block ×11, first 2 shown]
	v_cndmask_b32_e32 v123, v39, v1, vcc_lo
	v_cndmask_b32_e64 v124, v37, v1, s9
	v_cndmask_b32_e64 v125, v38, v1, s10
	;; [unrolled: 1-line block ×35, first 2 shown]
	v_mul_f64 v[1:2], v[1:2], v[7:8]
	v_cndmask_b32_e64 v4, v4, v119, s19
	v_cndmask_b32_e64 v5, v5, v49, s28
	;; [unrolled: 1-line block ×11, first 2 shown]
	v_cndmask_b32_e32 v18, v18, v36, vcc_lo
	v_cndmask_b32_e64 v31, v6, v108, s20
	v_cndmask_b32_e64 v4, v3, v129, s30
	;; [unrolled: 1-line block ×6, first 2 shown]
	v_cndmask_b32_e32 v17, v17, v35, vcc_lo
	v_mul_f64 v[29:30], v[3:4], v[7:8]
	v_cndmask_b32_e64 v3, v31, v127, s19
	v_cndmask_b32_e64 v4, v14, v134, s19
	v_fma_f64 v[31:32], v[5:6], v[109:110], v[1:2]
	v_cndmask_b32_e64 v16, v16, v36, s9
	v_cndmask_b32_e64 v15, v15, v35, s9
	;; [unrolled: 1-line block ×18, first 2 shown]
	v_fma_f64 v[29:30], v[1:2], v[109:110], v[29:30]
	v_cndmask_b32_e64 v4, v44, v36, s15
	v_cndmask_b32_e64 v3, v139, v35, s15
	;; [unrolled: 1-line block ×4, first 2 shown]
	v_cndmask_b32_e32 v116, v116, v32, vcc_lo
	v_cndmask_b32_e32 v122, v46, v31, vcc_lo
	v_cndmask_b32_e64 v118, v118, v32, s9
	v_cndmask_b32_e64 v121, v47, v31, s9
	;; [unrolled: 1-line block ×16, first 2 shown]
	v_cndmask_b32_e32 v129, v129, v30, vcc_lo
	v_cndmask_b32_e32 v132, v132, v29, vcc_lo
	v_cndmask_b32_e64 v130, v130, v30, s9
	v_cndmask_b32_e64 v131, v48, v29, s9
	;; [unrolled: 1-line block ×16, first 2 shown]
	s_waitcnt vmcnt(0)
	buffer_store_dword v21, off, s[0:3], 0 offset:84
.LBB0_21:
	s_or_b32 exec_lo, exec_lo, s54
	buffer_store_dword v28, off, s[0:3], 0 offset:80
	s_and_saveexec_b32 s6, s4
	s_cbranch_execz .LBB0_30
; %bb.22:
	s_mov_b32 s7, 0
	s_branch .LBB0_24
.LBB0_23:                               ;   in Loop: Header=BB0_24 Depth=1
	s_or_b32 exec_lo, exec_lo, s9
	s_waitcnt vmcnt(0)
	v_cmp_gt_i32_e32 vcc_lo, 0, v21
	v_mov_b32_e32 v25, v21
	s_or_b32 s7, vcc_lo, s7
	s_andn2_b32 exec_lo, exec_lo, s7
	s_cbranch_execz .LBB0_30
.LBB0_24:                               ; =>This Inner Loop Header: Depth=1
	v_lshl_add_u32 v22, v25, 2, 0
	v_cmp_eq_u32_e32 vcc_lo, 1, v25
	s_mov_b32 s8, 0
	s_mov_b32 s9, exec_lo
	buffer_load_dword v21, v22, s[0:3], 0 offen offset:40
	v_cndmask_b32_e32 v28, v84, v82, vcc_lo
	v_cndmask_b32_e32 v29, v83, v81, vcc_lo
	v_cmp_eq_u32_e32 vcc_lo, 2, v25
	v_cndmask_b32_e32 v28, v28, v80, vcc_lo
	v_cndmask_b32_e32 v29, v29, v79, vcc_lo
	v_cmp_eq_u32_e32 vcc_lo, 3, v25
	;; [unrolled: 3-line block ×7, first 2 shown]
	v_cndmask_b32_e32 v29, v28, v111, vcc_lo
	v_cndmask_b32_e32 v28, v30, v123, vcc_lo
	v_cmpx_ngt_f64_e32 0, v[28:29]
	s_xor_b32 s9, exec_lo, s9
	s_cbranch_execnz .LBB0_27
; %bb.25:                               ;   in Loop: Header=BB0_24 Depth=1
	s_or_saveexec_b32 s9, s9
	v_mov_b32_e32 v28, 0x50
	s_xor_b32 exec_lo, exec_lo, s9
	s_cbranch_execnz .LBB0_28
.LBB0_26:                               ;   in Loop: Header=BB0_24 Depth=1
	s_or_b32 exec_lo, exec_lo, s9
	s_and_saveexec_b32 s9, s8
	s_cbranch_execz .LBB0_23
	s_branch .LBB0_29
.LBB0_27:                               ;   in Loop: Header=BB0_24 Depth=1
	buffer_load_dword v22, off, s[0:3], 0 offset:80
	s_waitcnt vmcnt(0)
	v_cmp_eq_u32_e32 vcc_lo, -1, v22
                                        ; implicit-def: $vgpr22
	s_and_b32 s8, vcc_lo, exec_lo
	s_or_saveexec_b32 s9, s9
	v_mov_b32_e32 v28, 0x50
	s_xor_b32 exec_lo, exec_lo, s9
	s_cbranch_execz .LBB0_26
.LBB0_28:                               ;   in Loop: Header=BB0_24 Depth=1
	buffer_load_dword v29, off, s[0:3], 0 offset:84
	v_mov_b32_e32 v28, 0x54
	s_or_b32 s8, s8, exec_lo
	s_waitcnt vmcnt(0)
	buffer_store_dword v29, v22, s[0:3], 0 offen offset:40
	s_or_b32 exec_lo, exec_lo, s9
	s_and_saveexec_b32 s9, s8
	s_cbranch_execz .LBB0_23
.LBB0_29:                               ;   in Loop: Header=BB0_24 Depth=1
	buffer_store_dword v25, v28, s[0:3], 0 offen
	s_branch .LBB0_23
.LBB0_30:
	s_or_b32 exec_lo, exec_lo, s6
	s_and_saveexec_b32 s6, s5
	s_cbranch_execz .LBB0_32
; %bb.31:
	v_cmp_gt_f64_e32 vcc_lo, 0, v[19:20]
	v_lshl_add_u32 v19, v26, 2, 0
	v_lshl_add_u32 v20, v23, 2, 0
	;; [unrolled: 1-line block ×3, first 2 shown]
	s_and_b32 s4, s4, vcc_lo
	s_or_b32 s4, s49, s4
	v_cndmask_b32_e64 v21, v27, -1, s4
	buffer_store_dword v23, v19, s[0:3], 0 offen offset:40
	buffer_store_dword v24, v20, s[0:3], 0 offen offset:40
	buffer_store_dword v21, v22, s[0:3], 0 offen offset:40
.LBB0_32:
	s_or_b32 exec_lo, exec_lo, s6
	buffer_load_dword v25, off, s[0:3], 0 offset:80
	v_mov_b32_e32 v26, -1
	v_mov_b32_e32 v27, -1
	;; [unrolled: 1-line block ×4, first 2 shown]
	s_mov_b32 s49, 0
	v_mov_b32_e32 v22, -1
	v_mov_b32_e32 v23, -1
	s_waitcnt vmcnt(0)
	v_cmp_eq_u32_e32 vcc_lo, 1, v25
	v_cmp_eq_u32_e64 s4, 7, v25
	v_cndmask_b32_e32 v19, v2, v4, vcc_lo
	v_cndmask_b32_e32 v20, v1, v3, vcc_lo
	v_cmp_eq_u32_e32 vcc_lo, 2, v25
	v_cndmask_b32_e32 v19, v19, v6, vcc_lo
	v_cndmask_b32_e32 v20, v20, v5, vcc_lo
	v_cmp_eq_u32_e32 vcc_lo, 3, v25
	;; [unrolled: 3-line block ×6, first 2 shown]
	v_cndmask_b32_e64 v19, v19, v16, s4
	v_cndmask_b32_e64 v24, v20, v15, s4
	v_cmp_lt_i32_e64 s4, -1, v25
	v_cndmask_b32_e32 v20, v19, v18, vcc_lo
	v_cndmask_b32_e32 v19, v24, v17, vcc_lo
	s_and_saveexec_b32 s9, s4
	s_cbranch_execz .LBB0_36
; %bb.33:
	v_mov_b32_e32 v24, v20
	v_mov_b32_e32 v26, -1
	v_mov_b32_e32 v28, v25
	v_mov_b32_e32 v21, -1
	v_mov_b32_e32 v22, -1
	;; [unrolled: 1-line block ×3, first 2 shown]
	v_mov_b32_e32 v23, v19
	s_mov_b32 s10, 0
                                        ; implicit-def: $sgpr11
.LBB0_34:                               ; =>This Inner Loop Header: Depth=1
	v_lshl_add_u32 v29, v28, 2, 0
	v_cmp_gt_f64_e64 s7, 0, v[23:24]
	buffer_load_dword v31, v29, s[0:3], 0 offen offset:40
	s_waitcnt vmcnt(0)
	v_cmp_gt_i32_e32 vcc_lo, 0, v31
	v_cndmask_b32_e32 v32, v31, v25, vcc_lo
	v_cmp_eq_u32_e64 s5, 1, v32
	v_cndmask_b32_e64 v29, v2, v4, s5
	v_cndmask_b32_e64 v30, v1, v3, s5
	v_cmp_eq_u32_e64 s5, 2, v32
	v_cndmask_b32_e64 v29, v29, v6, s5
	v_cndmask_b32_e64 v30, v30, v5, s5
	;; [unrolled: 3-line block ×8, first 2 shown]
	v_cmp_le_f64_e64 s5, 0, v[23:24]
	v_cmp_gt_f64_e64 s6, 0, v[29:30]
	v_cmp_le_f64_e64 s8, 0, v[29:30]
	v_mov_b32_e32 v23, v29
	v_mov_b32_e32 v24, v30
	s_and_b32 s5, s5, s6
	s_and_b32 s6, s7, s8
	v_cndmask_b32_e64 v22, v22, v32, s5
	v_cndmask_b32_e64 v27, v27, v32, s6
	s_or_b32 s10, vcc_lo, s10
	v_cndmask_b32_e64 v26, v26, v28, s5
	v_cndmask_b32_e64 v21, v21, v28, s6
	v_mov_b32_e32 v28, v31
	s_andn2_b32 s5, s11, exec_lo
	s_and_b32 s6, s7, exec_lo
	s_or_b32 s11, s5, s6
	s_andn2_b32 exec_lo, exec_lo, s10
	s_cbranch_execnz .LBB0_34
; %bb.35:
	s_or_b32 exec_lo, exec_lo, s10
	s_and_b32 s49, s11, exec_lo
.LBB0_36:
	s_or_b32 exec_lo, exec_lo, s9
	v_mov_b32_e32 v28, -1
	v_cmp_lt_i32_e64 s5, -1, v26
	v_mov_b32_e32 v23, -1
	v_mov_b32_e32 v24, -1
	s_and_saveexec_b32 s54, s5
	s_cbranch_execz .LBB0_38
; %bb.37:
	buffer_load_dword v23, off, s[0:3], 0 offset:84
	v_cmp_eq_u32_e64 s11, 1, v22
	v_cmp_eq_u32_e64 s16, 1, v26
	;; [unrolled: 1-line block ×5, first 2 shown]
	v_cndmask_b32_e64 v24, v2, v4, s11
	v_cndmask_b32_e64 v29, v1, v3, s11
	;; [unrolled: 1-line block ×4, first 2 shown]
	v_cmp_eq_u32_e64 s12, 3, v26
	v_cndmask_b32_e64 v24, v24, v6, s28
	v_cndmask_b32_e64 v29, v29, v5, s28
	;; [unrolled: 1-line block ×4, first 2 shown]
	v_cmp_eq_u32_e64 s40, 4, v22
	v_cndmask_b32_e64 v24, v24, v8, s38
	v_cndmask_b32_e64 v29, v29, v7, s38
	;; [unrolled: 1-line block ×3, first 2 shown]
	v_cmp_eq_u32_e64 s13, 4, v26
	v_cndmask_b32_e64 v31, v31, v7, s12
	v_cndmask_b32_e64 v24, v24, v10, s40
	v_cmp_eq_u32_e64 s42, 5, v22
	v_cndmask_b32_e64 v29, v29, v9, s40
	v_cndmask_b32_e64 v30, v30, v10, s13
	;; [unrolled: 3-line block ×9, first 2 shown]
	v_cndmask_b32_e64 v29, v22, v17, s22
	v_cmp_eq_u32_e64 s9, 1, v21
	v_cndmask_b32_e64 v32, v32, v18, s8
	v_cndmask_b32_e64 v31, v31, v17, s8
	v_cmp_eq_u32_e64 s14, 1, v27
	v_add_f64 v[33:34], -v[29:30], 0
	v_cmp_eq_u32_e64 s27, 2, v21
	v_cmp_eq_u32_e64 s15, 2, v27
	v_add_f64 v[35:36], v[31:32], -v[29:30]
	v_cmp_eq_u32_e64 s35, 3, v21
	v_cmp_eq_u32_e64 s20, 3, v27
	;; [unrolled: 1-line block ×12, first 2 shown]
	v_div_scale_f64 v[37:38], null, v[35:36], v[35:36], v[33:34]
	v_rcp_f64_e32 v[39:40], v[37:38]
	v_fma_f64 v[41:42], -v[37:38], v[39:40], 1.0
	v_fma_f64 v[39:40], v[39:40], v[41:42], v[39:40]
	v_fma_f64 v[41:42], -v[37:38], v[39:40], 1.0
	v_fma_f64 v[39:40], v[39:40], v[41:42], v[39:40]
	v_div_scale_f64 v[41:42], vcc_lo, v[33:34], v[35:36], v[33:34]
	v_mul_f64 v[43:44], v[41:42], v[39:40]
	v_fma_f64 v[37:38], -v[37:38], v[43:44], v[41:42]
	v_div_fmas_f64 v[37:38], v[37:38], v[39:40], v[43:44]
	v_cndmask_b32_e64 v39, v83, v81, s16
	v_cndmask_b32_e64 v39, v39, v79, s17
	;; [unrolled: 1-line block ×3, first 2 shown]
	v_div_fixup_f64 v[33:34], v[37:38], v[35:36], v[33:34]
	v_cndmask_b32_e64 v35, v83, v81, s11
	v_cndmask_b32_e64 v38, v84, v82, s16
	;; [unrolled: 1-line block ×9, first 2 shown]
	v_add_f64 v[35:36], -v[33:34], 1.0
	v_cndmask_b32_e64 v37, v37, v125, s18
	v_cndmask_b32_e64 v37, v37, v124, s19
	;; [unrolled: 1-line block ×3, first 2 shown]
	s_waitcnt vmcnt(0)
	v_lshl_add_u32 v22, v23, 2, 0
	v_mul_f64 v[29:30], v[29:30], v[35:36]
	v_cmp_eq_u32_e64 s33, 1, v23
	v_cmp_eq_u32_e64 s34, 0, v23
	;; [unrolled: 1-line block ×3, first 2 shown]
	buffer_load_dword v24, v22, s[0:3], 0 offen offset:40
	v_cndmask_b32_e64 v22, v84, v82, s11
	v_cmp_eq_u32_e64 s45, 7, v23
	v_cmp_eq_u32_e64 s46, 6, v23
	;; [unrolled: 1-line block ×4, first 2 shown]
	v_cndmask_b32_e64 v22, v22, v80, s28
	v_cmp_eq_u32_e64 s30, 3, v23
	v_cmp_eq_u32_e64 s31, 2, v23
	v_cndmask_b32_e64 v22, v22, v92, s38
	v_cndmask_b32_e64 v22, v22, v94, s40
	;; [unrolled: 1-line block ×8, first 2 shown]
	v_mul_f64 v[37:38], v[37:38], v[35:36]
	v_cndmask_b32_e64 v22, v22, v126, s10
	v_cndmask_b32_e64 v39, v39, v113, s6
	;; [unrolled: 1-line block ×7, first 2 shown]
	v_fma_f64 v[37:38], v[39:40], v[33:34], v[37:38]
	v_fma_f64 v[39:40], v[31:32], v[33:34], v[29:30]
	v_cndmask_b32_e64 v135, v123, v37, s44
	v_cndmask_b32_e64 v3, v3, v39, s33
	;; [unrolled: 1-line block ×68, first 2 shown]
	v_add_f64 v[43:44], -v[39:40], 0
	v_cndmask_b32_e64 v83, v113, v38, s46
	v_add_f64 v[45:46], v[41:42], -v[39:40]
	v_cndmask_b32_e64 v21, v21, v86, s28
	v_cndmask_b32_e64 v32, v32, v101, s38
	;; [unrolled: 1-line block ×12, first 2 shown]
	v_div_scale_f64 v[47:48], null, v[45:46], v[45:46], v[43:44]
	v_cndmask_b32_e64 v32, v32, v121, s19
	v_cndmask_b32_e64 v21, v21, v118, s19
	;; [unrolled: 1-line block ×7, first 2 shown]
	v_mul_f64 v[125:126], v[125:126], v[35:36]
	v_cndmask_b32_e64 v32, v32, v120, s6
	v_rcp_f64_e32 v[49:50], v[47:48]
	v_cndmask_b32_e64 v32, v32, v121, s7
	v_fma_f64 v[109:110], -v[47:48], v[49:50], 1.0
	v_fma_f64 v[49:50], v[49:50], v[109:110], v[49:50]
	v_fma_f64 v[109:110], -v[47:48], v[49:50], 1.0
	v_fma_f64 v[49:50], v[49:50], v[109:110], v[49:50]
	v_div_scale_f64 v[109:110], vcc_lo, v[43:44], v[45:46], v[43:44]
	v_mul_f64 v[123:124], v[109:110], v[49:50]
	s_waitcnt vmcnt(0)
	v_lshl_add_u32 v37, v24, 2, 0
	buffer_load_dword v139, v37, s[0:3], 0 offen offset:40
	v_cndmask_b32_e64 v37, v90, v88, s16
	v_cndmask_b32_e64 v37, v37, v86, s17
	v_fma_f64 v[47:48], -v[47:48], v[123:124], v[109:110]
	v_cndmask_b32_e64 v109, v32, v122, s8
	v_cndmask_b32_e64 v37, v37, v102, s12
	;; [unrolled: 1-line block ×6, first 2 shown]
	v_cmp_eq_u32_e64 s11, 3, v24
	v_cndmask_b32_e64 v21, v21, v117, s10
	v_cndmask_b32_e64 v37, v37, v95, s28
	;; [unrolled: 1-line block ×6, first 2 shown]
	v_div_fmas_f64 v[47:48], v[47:48], v[49:50], v[123:124]
	v_cndmask_b32_e64 v21, v21, v118, s7
	v_cndmask_b32_e64 v49, v37, v107, s40
	;; [unrolled: 1-line block ×7, first 2 shown]
	v_cmp_eq_u32_e32 vcc_lo, 8, v24
	v_cmp_eq_u32_e64 s16, 0, v24
	v_cndmask_b32_e64 v32, v32, v128, s18
	v_fma_f64 v[109:110], v[109:110], v[33:34], v[125:126]
	v_cndmask_b32_e64 v21, v21, v96, s17
	v_cndmask_b32_e64 v32, v32, v130, s19
	;; [unrolled: 1-line block ×3, first 2 shown]
	v_div_fixup_f64 v[37:38], v[47:48], v[45:46], v[43:44]
	v_cndmask_b32_e64 v21, v21, v108, s13
	v_cndmask_b32_e64 v43, v49, v134, s42
	;; [unrolled: 1-line block ×23, first 2 shown]
	v_mul_f64 v[35:36], v[43:44], v[35:36]
	v_add_f64 v[46:47], -v[37:38], 1.0
	v_cndmask_b32_e64 v32, v32, v138, s37
	v_cndmask_b32_e64 v21, v21, v91, s37
	;; [unrolled: 1-line block ×20, first 2 shown]
	v_fma_f64 v[32:33], v[44:45], v[33:34], v[35:36]
	v_mul_f64 v[34:35], v[48:49], v[46:47]
	v_cndmask_b32_e64 v21, v21, v91, s21
	v_cndmask_b32_e64 v36, v43, v138, s21
	;; [unrolled: 1-line block ×7, first 2 shown]
	v_cmp_eq_u32_e64 s8, 5, v24
	v_cmp_eq_u32_e64 s12, 2, v24
	v_cndmask_b32_e64 v48, v85, v109, s31
	v_cndmask_b32_e64 v21, v21, v81, s25
	;; [unrolled: 1-line block ×3, first 2 shown]
	v_cmp_eq_u32_e64 s6, 7, v24
	v_cmp_eq_u32_e64 s13, 1, v24
	v_cndmask_b32_e64 v45, v101, v109, s30
	v_cndmask_b32_e64 v44, v21, v79, s26
	;; [unrolled: 1-line block ×7, first 2 shown]
	v_fma_f64 v[34:35], v[43:44], v[37:38], v[34:35]
	v_cndmask_b32_e64 v21, v21, v86, s15
	v_cndmask_b32_e64 v121, v121, v109, s45
	;; [unrolled: 1-line block ×7, first 2 shown]
	v_cmp_eq_u32_e64 s7, 6, v24
	v_cndmask_b32_e64 v101, v115, v110, s46
	v_cndmask_b32_e64 v99, v99, v32, s33
	;; [unrolled: 1-line block ×8, first 2 shown]
	v_mul_f64 v[39:40], v[39:40], v[46:47]
	v_cndmask_b32_e64 v96, v96, v33, s31
	v_cmp_eq_u32_e64 s10, 4, v24
	v_cndmask_b32_e64 v105, v105, v32, s30
	v_cndmask_b32_e64 v106, v106, v33, s30
	v_cndmask_b32_e32 v111, v79, v35, vcc_lo
	v_cndmask_b32_e64 v114, v91, v35, s8
	v_cndmask_b32_e64 v91, v30, v34, s11
	;; [unrolled: 1-line block ×12, first 2 shown]
	v_cndmask_b32_e32 v123, v135, v34, vcc_lo
	v_cndmask_b32_e64 v29, v29, v36, s35
	v_cndmask_b32_e64 v30, v30, v45, s35
	;; [unrolled: 1-line block ×48, first 2 shown]
	v_fma_f64 v[32:33], v[41:42], v[37:38], v[39:40]
	v_cndmask_b32_e64 v34, v98, v100, s14
	v_cndmask_b32_e64 v39, v97, v99, s14
	v_mul_f64 v[21:22], v[21:22], v[46:47]
	v_cndmask_b32_e64 v30, v30, v119, s21
	v_cndmask_b32_e64 v29, v29, v128, s39
	;; [unrolled: 1-line block ×17, first 2 shown]
	v_mul_f64 v[29:30], v[29:30], v[46:47]
	v_cndmask_b32_e64 v31, v31, v127, s21
	v_cndmask_b32_e64 v39, v39, v134, s21
	v_cndmask_b32_e32 v18, v18, v33, vcc_lo
	v_fma_f64 v[21:22], v[34:35], v[37:38], v[21:22]
	v_cndmask_b32_e32 v17, v17, v32, vcc_lo
	v_cndmask_b32_e64 v31, v31, v128, s24
	v_cndmask_b32_e64 v34, v39, v110, s24
	;; [unrolled: 1-line block ×16, first 2 shown]
	v_fma_f64 v[29:30], v[34:35], v[37:38], v[29:30]
	v_cndmask_b32_e64 v6, v6, v33, s12
	v_cndmask_b32_e64 v5, v5, v32, s12
	;; [unrolled: 1-line block ×6, first 2 shown]
	v_cndmask_b32_e32 v116, v85, v22, vcc_lo
	v_cndmask_b32_e32 v122, v122, v21, vcc_lo
	v_cndmask_b32_e64 v118, v87, v22, s6
	v_cndmask_b32_e64 v121, v121, v21, s6
	;; [unrolled: 1-line block ×16, first 2 shown]
	v_cndmask_b32_e32 v129, v129, v30, vcc_lo
	v_cndmask_b32_e32 v132, v43, v29, vcc_lo
	v_cndmask_b32_e64 v130, v130, v30, s6
	v_cndmask_b32_e64 v131, v44, v29, s6
	;; [unrolled: 1-line block ×16, first 2 shown]
	s_waitcnt vmcnt(0)
	buffer_store_dword v139, off, s[0:3], 0 offset:84
.LBB0_38:
	s_or_b32 exec_lo, exec_lo, s54
	buffer_store_dword v28, off, s[0:3], 0 offset:80
	s_and_saveexec_b32 s6, s4
	s_cbranch_execz .LBB0_47
; %bb.39:
	s_mov_b32 s7, 0
	s_branch .LBB0_41
.LBB0_40:                               ;   in Loop: Header=BB0_41 Depth=1
	s_or_b32 exec_lo, exec_lo, s9
	s_waitcnt vmcnt(0)
	v_cmp_gt_i32_e32 vcc_lo, 0, v21
	v_mov_b32_e32 v25, v21
	s_or_b32 s7, vcc_lo, s7
	s_andn2_b32 exec_lo, exec_lo, s7
	s_cbranch_execz .LBB0_47
.LBB0_41:                               ; =>This Inner Loop Header: Depth=1
	v_lshl_add_u32 v22, v25, 2, 0
	v_cmp_eq_u32_e32 vcc_lo, 1, v25
	s_mov_b32 s8, 0
	s_mov_b32 s9, exec_lo
	buffer_load_dword v21, v22, s[0:3], 0 offen offset:40
	v_cndmask_b32_e32 v28, v2, v4, vcc_lo
	v_cndmask_b32_e32 v29, v1, v3, vcc_lo
	v_cmp_eq_u32_e32 vcc_lo, 2, v25
	v_cndmask_b32_e32 v28, v28, v6, vcc_lo
	v_cndmask_b32_e32 v29, v29, v5, vcc_lo
	v_cmp_eq_u32_e32 vcc_lo, 3, v25
	;; [unrolled: 3-line block ×7, first 2 shown]
	v_cndmask_b32_e32 v29, v28, v18, vcc_lo
	v_cndmask_b32_e32 v28, v30, v17, vcc_lo
	v_cmpx_ngt_f64_e32 0, v[28:29]
	s_xor_b32 s9, exec_lo, s9
	s_cbranch_execnz .LBB0_44
; %bb.42:                               ;   in Loop: Header=BB0_41 Depth=1
	s_or_saveexec_b32 s9, s9
	v_mov_b32_e32 v28, 0x50
	s_xor_b32 exec_lo, exec_lo, s9
	s_cbranch_execnz .LBB0_45
.LBB0_43:                               ;   in Loop: Header=BB0_41 Depth=1
	s_or_b32 exec_lo, exec_lo, s9
	s_and_saveexec_b32 s9, s8
	s_cbranch_execz .LBB0_40
	s_branch .LBB0_46
.LBB0_44:                               ;   in Loop: Header=BB0_41 Depth=1
	buffer_load_dword v22, off, s[0:3], 0 offset:80
	s_waitcnt vmcnt(0)
	v_cmp_eq_u32_e32 vcc_lo, -1, v22
                                        ; implicit-def: $vgpr22
	s_and_b32 s8, vcc_lo, exec_lo
	s_or_saveexec_b32 s9, s9
	v_mov_b32_e32 v28, 0x50
	s_xor_b32 exec_lo, exec_lo, s9
	s_cbranch_execz .LBB0_43
.LBB0_45:                               ;   in Loop: Header=BB0_41 Depth=1
	buffer_load_dword v29, off, s[0:3], 0 offset:84
	v_mov_b32_e32 v28, 0x54
	s_or_b32 s8, s8, exec_lo
	s_waitcnt vmcnt(0)
	buffer_store_dword v29, v22, s[0:3], 0 offen offset:40
	s_or_b32 exec_lo, exec_lo, s9
	s_and_saveexec_b32 s9, s8
	s_cbranch_execz .LBB0_40
.LBB0_46:                               ;   in Loop: Header=BB0_41 Depth=1
	buffer_store_dword v25, v28, s[0:3], 0 offen
	s_branch .LBB0_40
.LBB0_47:
	s_or_b32 exec_lo, exec_lo, s6
	s_and_saveexec_b32 s6, s5
	s_cbranch_execz .LBB0_49
; %bb.48:
	v_cmp_gt_f64_e32 vcc_lo, 0, v[19:20]
	v_lshl_add_u32 v19, v26, 2, 0
	v_lshl_add_u32 v20, v23, 2, 0
	;; [unrolled: 1-line block ×3, first 2 shown]
	s_and_b32 s4, s4, vcc_lo
	s_or_b32 s4, s49, s4
	v_cndmask_b32_e64 v21, v27, -1, s4
	buffer_store_dword v23, v19, s[0:3], 0 offen offset:40
	buffer_store_dword v24, v20, s[0:3], 0 offen offset:40
	;; [unrolled: 1-line block ×3, first 2 shown]
.LBB0_49:
	s_or_b32 exec_lo, exec_lo, s6
	buffer_load_dword v25, off, s[0:3], 0 offset:80
	v_mov_b32_e32 v26, -1
	v_mov_b32_e32 v27, -1
	;; [unrolled: 1-line block ×4, first 2 shown]
	s_mov_b32 s49, 0
	v_mov_b32_e32 v22, -1
	v_mov_b32_e32 v23, -1
	s_waitcnt vmcnt(0)
	v_cmp_eq_u32_e32 vcc_lo, 1, v25
	v_cmp_eq_u32_e64 s4, 7, v25
	v_cndmask_b32_e32 v19, v90, v88, vcc_lo
	v_cndmask_b32_e32 v20, v89, v87, vcc_lo
	v_cmp_eq_u32_e32 vcc_lo, 2, v25
	v_cndmask_b32_e32 v19, v19, v86, vcc_lo
	v_cndmask_b32_e32 v20, v20, v85, vcc_lo
	v_cmp_eq_u32_e32 vcc_lo, 3, v25
	;; [unrolled: 3-line block ×6, first 2 shown]
	v_cndmask_b32_e64 v19, v19, v118, s4
	v_cndmask_b32_e64 v24, v20, v121, s4
	v_cmp_lt_i32_e64 s4, -1, v25
	v_cndmask_b32_e32 v20, v19, v116, vcc_lo
	v_cndmask_b32_e32 v19, v24, v122, vcc_lo
	s_and_saveexec_b32 s9, s4
	s_cbranch_execz .LBB0_53
; %bb.50:
	v_mov_b32_e32 v24, v20
	v_mov_b32_e32 v26, -1
	v_mov_b32_e32 v28, v25
	v_mov_b32_e32 v21, -1
	v_mov_b32_e32 v22, -1
	;; [unrolled: 1-line block ×3, first 2 shown]
	v_mov_b32_e32 v23, v19
	s_mov_b32 s10, 0
                                        ; implicit-def: $sgpr11
.LBB0_51:                               ; =>This Inner Loop Header: Depth=1
	v_lshl_add_u32 v29, v28, 2, 0
	v_cmp_gt_f64_e64 s7, 0, v[23:24]
	buffer_load_dword v31, v29, s[0:3], 0 offen offset:40
	s_waitcnt vmcnt(0)
	v_cmp_gt_i32_e32 vcc_lo, 0, v31
	v_cndmask_b32_e32 v32, v31, v25, vcc_lo
	v_cmp_eq_u32_e64 s5, 1, v32
	v_cndmask_b32_e64 v29, v90, v88, s5
	v_cndmask_b32_e64 v30, v89, v87, s5
	v_cmp_eq_u32_e64 s5, 2, v32
	v_cndmask_b32_e64 v29, v29, v86, s5
	v_cndmask_b32_e64 v30, v30, v85, s5
	;; [unrolled: 3-line block ×8, first 2 shown]
	v_cmp_le_f64_e64 s5, 0, v[23:24]
	v_cmp_gt_f64_e64 s6, 0, v[29:30]
	v_cmp_le_f64_e64 s8, 0, v[29:30]
	v_mov_b32_e32 v23, v29
	v_mov_b32_e32 v24, v30
	s_and_b32 s5, s5, s6
	s_and_b32 s6, s7, s8
	v_cndmask_b32_e64 v22, v22, v32, s5
	v_cndmask_b32_e64 v27, v27, v32, s6
	s_or_b32 s10, vcc_lo, s10
	v_cndmask_b32_e64 v26, v26, v28, s5
	v_cndmask_b32_e64 v21, v21, v28, s6
	v_mov_b32_e32 v28, v31
	s_andn2_b32 s5, s11, exec_lo
	s_and_b32 s6, s7, exec_lo
	s_or_b32 s11, s5, s6
	s_andn2_b32 exec_lo, exec_lo, s10
	s_cbranch_execnz .LBB0_51
; %bb.52:
	s_or_b32 exec_lo, exec_lo, s10
	s_and_b32 s49, s11, exec_lo
.LBB0_53:
	s_or_b32 exec_lo, exec_lo, s9
	v_mov_b32_e32 v28, -1
	v_cmp_lt_i32_e64 s5, -1, v26
	v_mov_b32_e32 v23, -1
	v_mov_b32_e32 v24, -1
	s_and_saveexec_b32 s54, s5
	s_cbranch_execz .LBB0_55
; %bb.54:
	buffer_load_dword v23, off, s[0:3], 0 offset:84
	v_cmp_eq_u32_e64 s15, 1, v22
	v_cmp_eq_u32_e64 s16, 1, v26
	;; [unrolled: 1-line block ×5, first 2 shown]
	v_cndmask_b32_e64 v24, v90, v88, s15
	v_cndmask_b32_e64 v29, v90, v88, s16
	;; [unrolled: 1-line block ×4, first 2 shown]
	v_cmp_eq_u32_e64 s9, 3, v26
	v_cndmask_b32_e64 v24, v24, v86, s27
	v_cndmask_b32_e64 v29, v29, v86, s17
	;; [unrolled: 1-line block ×4, first 2 shown]
	v_cmp_eq_u32_e64 s36, 4, v22
	v_cndmask_b32_e64 v24, v24, v102, s35
	v_cndmask_b32_e64 v29, v29, v102, s9
	;; [unrolled: 1-line block ×3, first 2 shown]
	v_cmp_eq_u32_e64 s10, 4, v26
	v_cndmask_b32_e64 v31, v31, v101, s9
	v_cndmask_b32_e64 v24, v24, v104, s36
	v_cmp_eq_u32_e64 s37, 5, v22
	v_cndmask_b32_e64 v30, v30, v103, s36
	v_cndmask_b32_e64 v29, v29, v104, s10
	;; [unrolled: 3-line block ×5, first 2 shown]
	v_cmp_eq_u32_e64 s6, 7, v26
	v_cmp_eq_u32_e64 s26, 7, v22
	v_cndmask_b32_e64 v29, v29, v115, s12
	v_cndmask_b32_e64 v30, v30, v120, s38
	;; [unrolled: 1-line block ×3, first 2 shown]
	v_cmp_eq_u32_e64 s24, 8, v22
	v_cndmask_b32_e64 v24, v24, v118, s26
	v_cndmask_b32_e64 v22, v29, v118, s6
	v_cmp_eq_u32_e64 s7, 8, v26
	v_cndmask_b32_e64 v29, v30, v121, s26
	v_cndmask_b32_e64 v31, v31, v121, s6
	;; [unrolled: 1-line block ×3, first 2 shown]
	v_cmp_eq_u32_e64 s8, 1, v21
	v_cndmask_b32_e64 v32, v22, v116, s7
	v_cndmask_b32_e64 v29, v29, v122, s24
	;; [unrolled: 1-line block ×3, first 2 shown]
	v_cmp_eq_u32_e64 s14, 1, v27
	v_cmp_eq_u32_e64 s25, 2, v21
	;; [unrolled: 1-line block ×3, first 2 shown]
	v_add_f64 v[33:34], -v[29:30], 0
	v_add_f64 v[35:36], v[31:32], -v[29:30]
	v_cmp_eq_u32_e64 s28, 3, v21
	v_cmp_eq_u32_e64 s18, 3, v27
	;; [unrolled: 1-line block ×12, first 2 shown]
	v_div_scale_f64 v[37:38], null, v[35:36], v[35:36], v[33:34]
	v_div_scale_f64 v[43:44], vcc_lo, v[33:34], v[35:36], v[33:34]
	v_rcp_f64_e32 v[39:40], v[37:38]
	v_fma_f64 v[41:42], -v[37:38], v[39:40], 1.0
	v_fma_f64 v[39:40], v[39:40], v[41:42], v[39:40]
	v_fma_f64 v[41:42], -v[37:38], v[39:40], 1.0
	v_fma_f64 v[39:40], v[39:40], v[41:42], v[39:40]
	v_mul_f64 v[41:42], v[43:44], v[39:40]
	v_fma_f64 v[37:38], -v[37:38], v[41:42], v[43:44]
	v_div_fmas_f64 v[37:38], v[37:38], v[39:40], v[41:42]
	v_div_fixup_f64 v[109:110], v[37:38], v[35:36], v[33:34]
	v_cndmask_b32_e64 v33, v83, v81, s15
	v_cndmask_b32_e64 v34, v84, v82, s16
	;; [unrolled: 1-line block ×12, first 2 shown]
	v_add_f64 v[135:136], -v[109:110], 1.0
	v_cndmask_b32_e64 v33, v33, v125, s38
	v_cndmask_b32_e64 v33, v33, v124, s26
	;; [unrolled: 1-line block ×3, first 2 shown]
	v_mul_f64 v[29:30], v[29:30], v[135:136]
	s_waitcnt vmcnt(0)
	v_lshl_add_u32 v22, v23, 2, 0
	v_cmp_eq_u32_e64 s44, 1, v23
	v_cmp_eq_u32_e64 s40, 0, v23
	;; [unrolled: 1-line block ×4, first 2 shown]
	buffer_load_dword v24, v22, s[0:3], 0 offen offset:40
	v_cndmask_b32_e64 v22, v84, v82, s15
	v_cmp_eq_u32_e64 s47, 6, v23
	v_cmp_eq_u32_e64 s39, 5, v23
	;; [unrolled: 1-line block ×4, first 2 shown]
	v_cndmask_b32_e64 v22, v22, v80, s27
	v_cmp_eq_u32_e64 s42, 2, v23
	v_cndmask_b32_e64 v22, v22, v92, s35
	v_fma_f64 v[137:138], v[31:32], v[109:110], v[29:30]
	v_cndmask_b32_e64 v22, v22, v94, s36
	v_cndmask_b32_e64 v22, v22, v114, s37
	;; [unrolled: 1-line block ×9, first 2 shown]
	v_mul_f64 v[33:34], v[33:34], v[135:136]
	v_cndmask_b32_e64 v22, v22, v126, s11
	v_cndmask_b32_e64 v35, v35, v113, s12
	;; [unrolled: 1-line block ×18, first 2 shown]
	v_fma_f64 v[49:50], v[35:36], v[109:110], v[33:34]
	v_cndmask_b32_e64 v85, v22, v29, s14
	v_cndmask_b32_e64 v33, v119, v137, s39
	;; [unrolled: 1-line block ×52, first 2 shown]
	v_add_f64 v[89:90], -v[85:86], 0
	v_cndmask_b32_e64 v83, v2, v4, s16
	v_add_f64 v[101:102], v[87:88], -v[85:86]
	v_cndmask_b32_e64 v21, v21, v6, s27
	v_cndmask_b32_e64 v79, v79, v5, s27
	v_cndmask_b32_e64 v83, v83, v6, s17
	v_cndmask_b32_e64 v21, v21, v8, s35
	v_cndmask_b32_e64 v79, v79, v7, s35
	v_cndmask_b32_e64 v83, v83, v8, s9
	v_cndmask_b32_e64 v21, v21, v10, s36
	v_cndmask_b32_e64 v79, v79, v9, s36
	v_cndmask_b32_e64 v83, v83, v10, s10
	v_cndmask_b32_e64 v21, v21, v12, s37
	v_cndmask_b32_e64 v79, v79, v11, s37
	v_cndmask_b32_e64 v21, v21, v14, s38
	v_div_scale_f64 v[103:104], null, v[101:102], v[101:102], v[89:90]
	v_cndmask_b32_e64 v79, v79, v13, s38
	v_cndmask_b32_e64 v21, v21, v16, s26
	;; [unrolled: 1-line block ×7, first 2 shown]
	v_mul_f64 v[119:120], v[119:120], v[135:136]
	v_cndmask_b32_e64 v79, v79, v14, s12
	v_rcp_f64_e32 v[115:116], v[103:104]
	v_cndmask_b32_e64 v79, v79, v16, s6
	v_cndmask_b32_e64 v124, v79, v18, s7
	;; [unrolled: 1-line block ×3, first 2 shown]
	v_fma_f64 v[117:118], -v[103:104], v[115:116], 1.0
	v_fma_f64 v[115:116], v[115:116], v[117:118], v[115:116]
	v_fma_f64 v[117:118], -v[103:104], v[115:116], 1.0
	v_fma_f64 v[115:116], v[115:116], v[117:118], v[115:116]
	v_div_scale_f64 v[117:118], vcc_lo, v[89:90], v[101:102], v[89:90]
	v_mul_f64 v[121:122], v[117:118], v[115:116]
	v_fma_f64 v[103:104], -v[103:104], v[121:122], v[117:118]
	s_waitcnt vmcnt(0)
	v_lshl_add_u32 v81, v24, 2, 0
	buffer_load_dword v137, v81, s[0:3], 0 offen offset:40
	v_cndmask_b32_e64 v81, v1, v3, s16
	v_cndmask_b32_e64 v81, v81, v5, s17
	;; [unrolled: 1-line block ×15, first 2 shown]
	v_fma_f64 v[117:118], v[123:124], v[109:110], v[119:120]
	v_cndmask_b32_e64 v119, v80, v50, s42
	v_cndmask_b32_e64 v120, v82, v50, s44
	;; [unrolled: 1-line block ×3, first 2 shown]
	v_div_fmas_f64 v[79:80], v[103:104], v[115:116], v[121:122]
	v_cndmask_b32_e64 v103, v111, v95, s27
	v_cndmask_b32_e64 v50, v84, v50, s40
	;; [unrolled: 1-line block ×11, first 2 shown]
	v_cmp_eq_u32_e32 vcc_lo, 8, v24
	v_cndmask_b32_e64 v104, v104, v119, s13
	v_cndmask_b32_e64 v82, v82, v127, s11
	;; [unrolled: 1-line block ×8, first 2 shown]
	v_div_fixup_f64 v[89:90], v[79:80], v[101:102], v[89:90]
	v_cndmask_b32_e64 v79, v103, v95, s17
	v_cndmask_b32_e64 v80, v81, v130, s26
	;; [unrolled: 1-line block ×14, first 2 shown]
	v_mul_f64 v[79:80], v[79:80], v[135:136]
	v_cndmask_b32_e64 v84, v84, v134, s11
	v_cndmask_b32_e64 v82, v82, v130, s6
	;; [unrolled: 1-line block ×6, first 2 shown]
	v_add_f64 v[101:102], -v[89:90], 1.0
	v_cndmask_b32_e64 v5, v5, v114, s30
	v_cndmask_b32_e64 v81, v81, v126, s30
	;; [unrolled: 1-line block ×14, first 2 shown]
	v_fma_f64 v[79:80], v[81:82], v[109:110], v[79:80]
	v_cndmask_b32_e64 v82, v5, v21, s34
	v_cndmask_b32_e64 v81, v84, v139, s34
	;; [unrolled: 1-line block ×6, first 2 shown]
	v_mul_f64 v[81:82], v[81:82], v[101:102]
	v_cndmask_b32_e64 v1, v5, v114, s19
	v_cndmask_b32_e64 v3, v84, v126, s19
	v_cndmask_b32_e64 v110, v6, v118, s42
	v_cndmask_b32_e64 v4, v109, v104, s8
	v_cndmask_b32_e64 v12, v12, v118, s39
	v_cndmask_b32_e64 v1, v1, v91, s21
	v_cndmask_b32_e64 v3, v3, v125, s21
	v_cndmask_b32_e64 v5, v116, v115, s14
	v_cndmask_b32_e64 v4, v4, v103, s25
	v_cndmask_b32_e64 v6, v109, v104, s14
	v_cndmask_b32_e64 v1, v1, v83, s22
	v_cndmask_b32_e64 v3, v3, v140, s22
	v_cndmask_b32_e64 v13, v13, v117, s47
	v_cndmask_b32_e64 v4, v4, v7, s28
	v_cndmask_b32_e64 v14, v14, v118, s47
	v_cndmask_b32_e64 v2, v1, v21, s23
	v_cndmask_b32_e64 v1, v3, v139, s23
	v_cndmask_b32_e64 v3, v116, v115, s8
	v_cndmask_b32_e64 v4, v4, v9, s29
	v_cndmask_b32_e64 v5, v5, v110, s13
	v_cndmask_b32_e64 v6, v6, v103, s13
	v_fma_f64 v[1:2], v[1:2], v[89:90], v[81:82]
	v_cndmask_b32_e64 v3, v3, v110, s25
	v_cndmask_b32_e64 v4, v4, v11, s30
	v_cndmask_b32_e64 v15, v15, v117, s46
	v_cndmask_b32_e64 v16, v16, v118, s46
	v_cndmask_b32_e64 v5, v5, v8, s18
	v_cndmask_b32_e64 v3, v3, v8, s28
	v_cndmask_b32_e64 v4, v4, v13, s31
	v_cndmask_b32_e64 v6, v6, v7, s18
	v_cndmask_b32_e64 v17, v17, v117, s45
	v_cndmask_b32_e64 v18, v18, v118, s45
	v_cndmask_b32_e64 v3, v3, v10, s29
	v_cndmask_b32_e64 v5, v5, v10, s20
	v_cndmask_b32_e64 v6, v6, v9, s20
	v_cndmask_b32_e64 v99, v99, v79, s44
	v_cndmask_b32_e64 v97, v97, v79, s40
	v_cndmask_b32_e64 v3, v3, v12, s30
	v_cndmask_b32_e64 v5, v5, v12, s19
	v_cndmask_b32_e64 v6, v6, v11, s19
	v_cndmask_b32_e64 v100, v100, v80, s44
	v_cndmask_b32_e64 v98, v98, v80, s40
	v_cndmask_b32_e64 v3, v3, v14, s31
	v_cndmask_b32_e32 v111, v21, v2, vcc_lo
	v_cndmask_b32_e64 v21, v4, v15, s33
	v_cndmask_b32_e64 v5, v5, v14, s21
	;; [unrolled: 1-line block ×14, first 2 shown]
	v_mul_f64 v[3:4], v[3:4], v[101:102]
	v_cndmask_b32_e64 v130, v130, v80, s46
	v_cndmask_b32_e64 v128, v128, v80, s47
	;; [unrolled: 1-line block ×6, first 2 shown]
	v_cmp_eq_u32_e64 s7, 6, v24
	v_cmp_eq_u32_e64 s11, 3, v24
	v_cndmask_b32_e64 v5, v5, v16, s22
	v_cndmask_b32_e64 v21, v6, v15, s22
	;; [unrolled: 1-line block ×10, first 2 shown]
	v_cmp_eq_u32_e64 s12, 1, v24
	v_cmp_eq_u32_e64 s6, 7, v24
	;; [unrolled: 1-line block ×3, first 2 shown]
	v_cndmask_b32_e64 v21, v21, v106, s28
	v_cndmask_b32_e64 v48, v48, v105, s28
	v_fma_f64 v[95:96], v[5:6], v[89:90], v[3:4]
	v_cmp_eq_u32_e64 s10, 4, v24
	v_cmp_eq_u32_e64 s8, 2, v24
	v_cndmask_b32_e64 v5, v21, v108, s29
	v_cndmask_b32_e64 v6, v48, v107, s29
	;; [unrolled: 1-line block ×7, first 2 shown]
	v_cmp_eq_u32_e64 s14, 0, v24
	v_cndmask_b32_e64 v112, v83, v2, s6
	v_cndmask_b32_e64 v114, v114, v2, s9
	;; [unrolled: 1-line block ×6, first 2 shown]
	v_mul_f64 v[3:4], v[85:86], v[101:102]
	v_cndmask_b32_e64 v84, v50, v2, s14
	v_cndmask_b32_e64 v2, v5, v128, s31
	;; [unrolled: 1-line block ×5, first 2 shown]
	v_cndmask_b32_e32 v123, v139, v1, vcc_lo
	v_cndmask_b32_e64 v124, v140, v1, s6
	v_cndmask_b32_e64 v125, v125, v1, s7
	;; [unrolled: 1-line block ×10, first 2 shown]
	v_cndmask_b32_e32 v18, v18, v96, vcc_lo
	v_cndmask_b32_e64 v2, v1, v129, s34
	v_cndmask_b32_e64 v1, v5, v132, s34
	;; [unrolled: 1-line block ×4, first 2 shown]
	v_fma_f64 v[45:46], v[87:88], v[89:90], v[3:4]
	v_cndmask_b32_e32 v17, v17, v95, vcc_lo
	v_mul_f64 v[1:2], v[1:2], v[101:102]
	v_cndmask_b32_e64 v5, v5, v127, s19
	v_cndmask_b32_e64 v6, v6, v134, s19
	;; [unrolled: 1-line block ×21, first 2 shown]
	v_fma_f64 v[47:48], v[47:48], v[89:90], v[1:2]
	v_cndmask_b32_e64 v3, v104, v95, s12
	v_cndmask_b32_e64 v2, v116, v96, s14
	;; [unrolled: 1-line block ×3, first 2 shown]
	v_cndmask_b32_e32 v116, v44, v46, vcc_lo
	v_cndmask_b32_e32 v122, v36, v45, vcc_lo
	v_cndmask_b32_e64 v118, v42, v46, s6
	v_cndmask_b32_e64 v121, v35, v45, s6
	;; [unrolled: 1-line block ×16, first 2 shown]
	v_cndmask_b32_e32 v129, v129, v48, vcc_lo
	v_cndmask_b32_e32 v132, v132, v47, vcc_lo
	v_cndmask_b32_e64 v130, v130, v48, s6
	v_cndmask_b32_e64 v131, v131, v47, s6
	;; [unrolled: 1-line block ×16, first 2 shown]
	s_waitcnt vmcnt(0)
	buffer_store_dword v137, off, s[0:3], 0 offset:84
.LBB0_55:
	s_or_b32 exec_lo, exec_lo, s54
	buffer_store_dword v28, off, s[0:3], 0 offset:80
	s_and_saveexec_b32 s6, s4
	s_cbranch_execz .LBB0_64
; %bb.56:
	s_mov_b32 s7, 0
	s_branch .LBB0_58
.LBB0_57:                               ;   in Loop: Header=BB0_58 Depth=1
	s_or_b32 exec_lo, exec_lo, s9
	s_waitcnt vmcnt(0)
	v_cmp_gt_i32_e32 vcc_lo, 0, v21
	v_mov_b32_e32 v25, v21
	s_or_b32 s7, vcc_lo, s7
	s_andn2_b32 exec_lo, exec_lo, s7
	s_cbranch_execz .LBB0_64
.LBB0_58:                               ; =>This Inner Loop Header: Depth=1
	v_lshl_add_u32 v22, v25, 2, 0
	v_cmp_eq_u32_e32 vcc_lo, 1, v25
	s_mov_b32 s8, 0
	s_mov_b32 s9, exec_lo
	buffer_load_dword v21, v22, s[0:3], 0 offen offset:40
	v_cndmask_b32_e32 v28, v90, v88, vcc_lo
	v_cndmask_b32_e32 v29, v89, v87, vcc_lo
	v_cmp_eq_u32_e32 vcc_lo, 2, v25
	v_cndmask_b32_e32 v28, v28, v86, vcc_lo
	v_cndmask_b32_e32 v29, v29, v85, vcc_lo
	v_cmp_eq_u32_e32 vcc_lo, 3, v25
	v_cndmask_b32_e32 v28, v28, v102, vcc_lo
	v_cndmask_b32_e32 v29, v29, v101, vcc_lo
	v_cmp_eq_u32_e32 vcc_lo, 4, v25
	v_cndmask_b32_e32 v28, v28, v104, vcc_lo
	v_cndmask_b32_e32 v29, v29, v103, vcc_lo
	v_cmp_eq_u32_e32 vcc_lo, 5, v25
	v_cndmask_b32_e32 v28, v28, v117, vcc_lo
	v_cndmask_b32_e32 v29, v29, v119, vcc_lo
	v_cmp_eq_u32_e32 vcc_lo, 6, v25
	v_cndmask_b32_e32 v28, v28, v115, vcc_lo
	v_cndmask_b32_e32 v29, v29, v120, vcc_lo
	v_cmp_eq_u32_e32 vcc_lo, 7, v25
	v_cndmask_b32_e32 v28, v28, v118, vcc_lo
	v_cndmask_b32_e32 v30, v29, v121, vcc_lo
	v_cmp_eq_u32_e32 vcc_lo, 8, v25
	v_cndmask_b32_e32 v29, v28, v116, vcc_lo
	v_cndmask_b32_e32 v28, v30, v122, vcc_lo
	v_cmpx_ngt_f64_e32 0, v[28:29]
	s_xor_b32 s9, exec_lo, s9
	s_cbranch_execnz .LBB0_61
; %bb.59:                               ;   in Loop: Header=BB0_58 Depth=1
	s_or_saveexec_b32 s9, s9
	v_mov_b32_e32 v28, 0x50
	s_xor_b32 exec_lo, exec_lo, s9
	s_cbranch_execnz .LBB0_62
.LBB0_60:                               ;   in Loop: Header=BB0_58 Depth=1
	s_or_b32 exec_lo, exec_lo, s9
	s_and_saveexec_b32 s9, s8
	s_cbranch_execz .LBB0_57
	s_branch .LBB0_63
.LBB0_61:                               ;   in Loop: Header=BB0_58 Depth=1
	buffer_load_dword v22, off, s[0:3], 0 offset:80
	s_waitcnt vmcnt(0)
	v_cmp_eq_u32_e32 vcc_lo, -1, v22
                                        ; implicit-def: $vgpr22
	s_and_b32 s8, vcc_lo, exec_lo
	s_or_saveexec_b32 s9, s9
	v_mov_b32_e32 v28, 0x50
	s_xor_b32 exec_lo, exec_lo, s9
	s_cbranch_execz .LBB0_60
.LBB0_62:                               ;   in Loop: Header=BB0_58 Depth=1
	buffer_load_dword v29, off, s[0:3], 0 offset:84
	v_mov_b32_e32 v28, 0x54
	s_or_b32 s8, s8, exec_lo
	s_waitcnt vmcnt(0)
	buffer_store_dword v29, v22, s[0:3], 0 offen offset:40
	s_or_b32 exec_lo, exec_lo, s9
	s_and_saveexec_b32 s9, s8
	s_cbranch_execz .LBB0_57
.LBB0_63:                               ;   in Loop: Header=BB0_58 Depth=1
	buffer_store_dword v25, v28, s[0:3], 0 offen
	s_branch .LBB0_57
.LBB0_64:
	s_or_b32 exec_lo, exec_lo, s6
	s_and_saveexec_b32 s6, s5
	s_cbranch_execz .LBB0_66
; %bb.65:
	v_cmp_gt_f64_e32 vcc_lo, 0, v[19:20]
	v_lshl_add_u32 v19, v26, 2, 0
	v_lshl_add_u32 v20, v23, 2, 0
	;; [unrolled: 1-line block ×3, first 2 shown]
	s_and_b32 s4, s4, vcc_lo
	s_or_b32 s4, s49, s4
	v_cndmask_b32_e64 v21, v27, -1, s4
	buffer_store_dword v23, v19, s[0:3], 0 offen offset:40
	buffer_store_dword v24, v20, s[0:3], 0 offen offset:40
	;; [unrolled: 1-line block ×3, first 2 shown]
.LBB0_66:
	s_or_b32 exec_lo, exec_lo, s6
	s_clause 0xa
	buffer_load_dword v109, off, s[0:3], 0 offset:80
	buffer_load_dword v110, off, s[0:3], 0 offset:84
	;; [unrolled: 1-line block ×11, first 2 shown]
	v_mov_b32_e32 v25, -1
	s_mov_b32 s47, 0
	s_waitcnt vmcnt(10)
	buffer_store_dword v109, off, s[0:3], 0 offset:88
	s_waitcnt vmcnt(9)
	buffer_store_dword v110, off, s[0:3], 0 offset:92
	v_cmp_eq_u32_e32 vcc_lo, 1, v109
	v_cmp_eq_u32_e64 s4, 3, v109
	s_waitcnt vmcnt(8)
	buffer_store_dword v19, off, s[0:3], 0
	s_waitcnt vmcnt(7)
	buffer_store_dword v20, off, s[0:3], 0 offset:4
	s_waitcnt vmcnt(6)
	buffer_store_dword v24, off, s[0:3], 0 offset:8
	;; [unrolled: 2-line block ×3, first 2 shown]
	v_mov_b32_e32 v26, -1
	v_cndmask_b32_e32 v21, v98, v100, vcc_lo
	v_cndmask_b32_e32 v22, v97, v99, vcc_lo
	v_cmp_eq_u32_e32 vcc_lo, 2, v109
	s_waitcnt vmcnt(4)
	buffer_store_dword v27, off, s[0:3], 0 offset:16
	s_waitcnt vmcnt(3)
	buffer_store_dword v28, off, s[0:3], 0 offset:20
	;; [unrolled: 2-line block ×5, first 2 shown]
	v_cndmask_b32_e32 v21, v21, v96, vcc_lo
	v_cndmask_b32_e32 v22, v22, v95, vcc_lo
	v_cmp_eq_u32_e32 vcc_lo, 4, v109
	v_cndmask_b32_e64 v32, v21, v106, s4
	v_cndmask_b32_e64 v33, v22, v105, s4
	v_mov_b32_e32 v21, -1
	v_mov_b32_e32 v22, -1
	;; [unrolled: 1-line block ×4, first 2 shown]
	v_cndmask_b32_e32 v23, v32, v108, vcc_lo
	v_cmp_eq_u32_e64 s4, 5, v109
	v_cndmask_b32_e32 v32, v33, v107, vcc_lo
	v_cmp_eq_u32_e32 vcc_lo, 6, v109
	v_cndmask_b32_e64 v23, v23, v127, s4
	v_cndmask_b32_e64 v32, v32, v134, s4
	v_cmp_eq_u32_e64 s4, 7, v109
	v_cndmask_b32_e32 v19, v23, v128, vcc_lo
	v_cndmask_b32_e32 v20, v32, v133, vcc_lo
	v_cmp_eq_u32_e32 vcc_lo, 8, v109
	v_cndmask_b32_e64 v19, v19, v130, s4
	v_cndmask_b32_e64 v23, v20, v131, s4
	v_cmp_lt_i32_e64 s4, -1, v109
	v_cndmask_b32_e32 v20, v19, v129, vcc_lo
	v_cndmask_b32_e32 v19, v23, v132, vcc_lo
	s_and_saveexec_b32 s9, s4
	s_cbranch_execz .LBB0_70
; %bb.67:
	v_mov_b32_e32 v24, v20
	v_mov_b32_e32 v25, -1
	v_mov_b32_e32 v27, v109
	v_mov_b32_e32 v21, -1
	v_mov_b32_e32 v22, -1
	;; [unrolled: 1-line block ×3, first 2 shown]
	v_mov_b32_e32 v23, v19
	s_mov_b32 s10, 0
                                        ; implicit-def: $sgpr11
.LBB0_68:                               ; =>This Inner Loop Header: Depth=1
	v_lshl_add_u32 v28, v27, 2, 0
	v_cmp_gt_f64_e64 s7, 0, v[23:24]
	buffer_load_dword v30, v28, s[0:3], 0 offen offset:40
	s_waitcnt vmcnt(0)
	v_cmp_gt_i32_e32 vcc_lo, 0, v30
	v_cndmask_b32_e32 v31, v30, v109, vcc_lo
	v_cmp_eq_u32_e64 s5, 1, v31
	v_cndmask_b32_e64 v28, v98, v100, s5
	v_cndmask_b32_e64 v29, v97, v99, s5
	v_cmp_eq_u32_e64 s5, 2, v31
	v_cndmask_b32_e64 v28, v28, v96, s5
	v_cndmask_b32_e64 v29, v29, v95, s5
	;; [unrolled: 3-line block ×8, first 2 shown]
	v_cmp_le_f64_e64 s5, 0, v[23:24]
	v_cmp_gt_f64_e64 s6, 0, v[28:29]
	v_cmp_le_f64_e64 s8, 0, v[28:29]
	v_mov_b32_e32 v23, v28
	v_mov_b32_e32 v24, v29
	s_and_b32 s5, s5, s6
	s_and_b32 s6, s7, s8
	v_cndmask_b32_e64 v22, v22, v31, s5
	v_cndmask_b32_e64 v26, v26, v31, s6
	s_or_b32 s10, vcc_lo, s10
	v_cndmask_b32_e64 v25, v25, v27, s5
	v_cndmask_b32_e64 v21, v21, v27, s6
	v_mov_b32_e32 v27, v30
	s_andn2_b32 s5, s11, exec_lo
	s_and_b32 s6, s7, exec_lo
	s_or_b32 s11, s5, s6
	s_andn2_b32 exec_lo, exec_lo, s10
	s_cbranch_execnz .LBB0_68
; %bb.69:
	s_or_b32 exec_lo, exec_lo, s10
	s_and_b32 s47, s11, exec_lo
.LBB0_70:
	s_or_b32 exec_lo, exec_lo, s9
	v_mov_b32_e32 v24, -1
	v_cmp_lt_i32_e64 s5, -1, v25
	v_lshl_add_u32 v135, v110, 2, 0
	v_mov_b32_e32 v27, -1
	v_mov_b32_e32 v23, -1
	s_and_saveexec_b32 s49, s5
	s_cbranch_execz .LBB0_72
; %bb.71:
	v_cmp_eq_u32_e64 s8, 1, v22
	v_cmp_eq_u32_e64 s22, 1, v25
	;; [unrolled: 1-line block ×5, first 2 shown]
	v_cndmask_b32_e64 v23, v98, v100, s8
	v_cndmask_b32_e64 v27, v98, v100, s22
	;; [unrolled: 1-line block ×4, first 2 shown]
	v_cmp_eq_u32_e64 s23, 3, v25
	v_cndmask_b32_e64 v23, v23, v96, s13
	v_cndmask_b32_e64 v27, v27, v96, s16
	;; [unrolled: 1-line block ×4, first 2 shown]
	v_cmp_eq_u32_e64 s15, 4, v22
	v_cndmask_b32_e64 v23, v23, v106, s19
	v_cndmask_b32_e64 v27, v27, v106, s23
	;; [unrolled: 1-line block ×3, first 2 shown]
	v_cmp_eq_u32_e64 s14, 4, v25
	v_cndmask_b32_e64 v29, v29, v105, s23
	v_cndmask_b32_e64 v23, v23, v108, s15
	v_cmp_eq_u32_e64 s17, 5, v22
	v_cndmask_b32_e64 v28, v28, v107, s15
	v_cndmask_b32_e64 v27, v27, v108, s14
	;; [unrolled: 3-line block ×9, first 2 shown]
	v_cndmask_b32_e64 v27, v22, v132, s21
	v_cmp_eq_u32_e64 s45, 1, v110
	v_cndmask_b32_e64 v30, v30, v129, s11
	v_cndmask_b32_e64 v29, v29, v132, s11
	v_cmp_eq_u32_e64 s46, 0, v110
	v_add_f64 v[31:32], -v[27:28], 0
	v_cmp_eq_u32_e64 s39, 7, v110
	v_cmp_eq_u32_e64 s40, 6, v110
	v_add_f64 v[33:34], v[29:30], -v[27:28]
	v_cmp_eq_u32_e64 s41, 5, v110
	v_cmp_eq_u32_e64 s42, 4, v110
	;; [unrolled: 1-line block ×20, first 2 shown]
	v_div_scale_f64 v[35:36], null, v[33:34], v[33:34], v[31:32]
	v_div_scale_f64 v[39:40], vcc_lo, v[31:32], v[33:34], v[31:32]
	v_rcp_f64_e32 v[22:23], v[35:36]
	v_fma_f64 v[37:38], -v[35:36], v[22:23], 1.0
	v_fma_f64 v[22:23], v[22:23], v[37:38], v[22:23]
	v_fma_f64 v[37:38], -v[35:36], v[22:23], 1.0
	v_fma_f64 v[37:38], v[22:23], v[37:38], v[22:23]
	buffer_load_dword v23, v135, s[0:3], 0 offen offset:40
	v_cndmask_b32_e64 v22, v84, v82, s8
	v_cndmask_b32_e64 v22, v22, v80, s13
	;; [unrolled: 1-line block ×4, first 2 shown]
	v_mul_f64 v[41:42], v[39:40], v[37:38]
	v_cndmask_b32_e64 v22, v22, v114, s17
	v_cndmask_b32_e64 v22, v22, v113, s18
	v_cndmask_b32_e64 v22, v22, v112, s20
	v_fma_f64 v[35:36], -v[35:36], v[41:42], v[39:40]
	v_div_fmas_f64 v[35:36], v[35:36], v[37:38], v[41:42]
	v_cmp_eq_u32_e32 vcc_lo, 8, v110
	v_div_fixup_f64 v[136:137], v[35:36], v[33:34], v[31:32]
	v_cndmask_b32_e64 v31, v83, v81, s8
	v_cndmask_b32_e64 v32, v84, v82, s22
	v_cndmask_b32_e64 v33, v83, v81, s22
	v_cndmask_b32_e64 v31, v31, v79, s13
	v_cndmask_b32_e64 v32, v32, v80, s16
	v_cndmask_b32_e64 v33, v33, v79, s16
	v_cndmask_b32_e64 v31, v31, v91, s19
	v_cndmask_b32_e64 v32, v32, v92, s23
	v_cndmask_b32_e64 v33, v33, v91, s23
	v_cndmask_b32_e64 v31, v31, v93, s15
	v_cndmask_b32_e64 v34, v32, v94, s14
	v_cndmask_b32_e64 v32, v22, v111, s21
	v_cndmask_b32_e64 v22, v33, v93, s14
	v_cndmask_b32_e64 v31, v31, v126, s17
	v_add_f64 v[138:139], -v[136:137], 1.0
	v_cndmask_b32_e64 v33, v34, v114, s9
	v_cndmask_b32_e64 v22, v22, v126, s9
	;; [unrolled: 1-line block ×11, first 2 shown]
	v_mul_f64 v[27:28], v[27:28], v[138:139]
	v_mul_f64 v[31:32], v[31:32], v[138:139]
	v_fma_f64 v[42:43], v[29:30], v[136:137], v[27:28]
	v_fma_f64 v[140:141], v[33:34], v[136:137], v[31:32]
	v_cndmask_b32_e64 v27, v99, v42, s45
	v_cndmask_b32_e64 v22, v97, v42, s46
	;; [unrolled: 1-line block ×7, first 2 shown]
	v_cndmask_b32_e32 v34, v132, v42, vcc_lo
	v_cndmask_b32_e64 v33, v131, v42, s39
	v_cndmask_b32_e64 v32, v133, v42, s40
	v_cndmask_b32_e64 v31, v134, v42, s41
	v_cndmask_b32_e64 v30, v107, v42, s42
	v_cndmask_b32_e64 v29, v105, v42, s43
	v_cndmask_b32_e64 v28, v95, v42, s44
	v_cndmask_b32_e32 v42, v129, v43, vcc_lo
	v_cndmask_b32_e64 v40, v130, v43, s39
	v_cndmask_b32_e64 v39, v128, v43, s40
	;; [unrolled: 1-line block ×10, first 2 shown]
	v_cndmask_b32_e32 v44, v123, v140, vcc_lo
	v_cndmask_b32_e64 v79, v79, v43, s31
	v_cndmask_b32_e64 v91, v91, v28, s31
	;; [unrolled: 1-line block ×36, first 2 shown]
	v_add_f64 v[99:100], -v[95:96], 0
	v_cndmask_b32_e64 v130, v90, v88, s8
	v_add_f64 v[105:106], v[97:98], -v[95:96]
	v_cndmask_b32_e64 v93, v93, v6, s13
	v_cndmask_b32_e64 v131, v131, v85, s13
	;; [unrolled: 1-line block ×21, first 2 shown]
	v_div_scale_f64 v[107:108], null, v[105:106], v[105:106], v[99:100]
	v_cndmask_b32_e64 v91, v91, v7, s23
	v_cndmask_b32_e64 v129, v129, v101, s23
	;; [unrolled: 1-line block ×19, first 2 shown]
	v_rcp_f64_e32 v[123:124], v[107:108]
	v_cndmask_b32_e64 v91, v91, v15, s12
	v_fma_f64 v[125:126], -v[107:108], v[123:124], 1.0
	s_waitcnt vmcnt(0)
	v_lshl_add_u32 v21, v23, 2, 0
	v_cmp_eq_u32_e64 s13, 0, v23
	buffer_load_dword v21, v21, s[0:3], 0 offen offset:40
	v_fma_f64 v[123:124], v[123:124], v[125:126], v[123:124]
	v_cndmask_b32_e64 v125, v127, v13, s18
	v_cndmask_b32_e64 v127, v131, v103, s15
	;; [unrolled: 1-line block ×11, first 2 shown]
	v_mul_f64 v[125:126], v[125:126], v[138:139]
	v_cndmask_b32_e64 v129, v127, v121, s20
	v_cndmask_b32_e64 v93, v93, v118, s20
	v_fma_f64 v[127:128], -v[107:108], v[123:124], 1.0
	v_cndmask_b32_e64 v130, v93, v116, s21
	v_cndmask_b32_e64 v93, v131, v117, s9
	;; [unrolled: 1-line block ×5, first 2 shown]
	v_cmp_eq_u32_e64 s9, 4, v23
	v_cndmask_b32_e64 v93, v93, v115, s10
	v_cndmask_b32_e64 v133, v131, v120, s10
	;; [unrolled: 1-line block ×3, first 2 shown]
	v_mul_f64 v[129:130], v[129:130], v[138:139]
	v_cmp_eq_u32_e64 s10, 3, v23
	v_cndmask_b32_e64 v79, v93, v118, s12
	v_cndmask_b32_e64 v91, v133, v121, s12
	v_cndmask_b32_e64 v93, v112, v141, s39
	v_cmp_eq_u32_e64 s12, 1, v23
	v_fma_f64 v[125:126], v[131:132], v[136:137], v[125:126]
	v_div_scale_f64 v[131:132], s8, v[99:100], v[105:106], v[99:100]
	v_fma_f64 v[123:124], v[123:124], v[127:128], v[123:124]
	v_cndmask_b32_e64 v128, v79, v116, s11
	v_cndmask_b32_e64 v127, v91, v122, s11
	v_cndmask_b32_e32 v91, v111, v141, vcc_lo
	v_cmp_eq_u32_e64 s11, 2, v23
	v_fma_f64 v[127:128], v[127:128], v[136:137], v[129:130]
	v_cndmask_b32_e64 v129, v80, v141, s44
	v_cndmask_b32_e64 v139, v1, v125, s46
	;; [unrolled: 1-line block ×3, first 2 shown]
	v_cndmask_b32_e32 v17, v17, v125, vcc_lo
	v_cndmask_b32_e32 v18, v18, v126, vcc_lo
	v_cndmask_b32_e64 v138, v3, v125, s45
	v_cndmask_b32_e64 v3, v84, v82, s38
	v_mul_f64 v[79:80], v[131:132], v[123:124]
	v_cndmask_b32_e64 v137, v5, v125, s44
	v_cndmask_b32_e64 v144, v6, v126, s44
	v_cndmask_b32_e64 v5, v84, v82, s25
	v_cndmask_b32_e64 v6, v83, v81, s25
	v_cndmask_b32_e64 v145, v4, v126, s45
	v_cndmask_b32_e64 v4, v83, v81, s38
	v_cndmask_b32_e64 v3, v3, v129, s34
	v_cndmask_b32_e64 v5, v5, v129, s31
	v_cndmask_b32_e64 v6, v6, v50, s31
	v_cndmask_b32_e32 v122, v122, v127, vcc_lo
	v_cndmask_b32_e32 v116, v116, v128, vcc_lo
	s_mov_b32 vcc_lo, s8
	v_cndmask_b32_e64 v121, v121, v127, s39
	v_cndmask_b32_e64 v120, v120, v127, s40
	;; [unrolled: 1-line block ×9, first 2 shown]
	v_fma_f64 v[1:2], -v[107:108], v[79:80], v[131:132]
	v_cndmask_b32_e64 v107, v85, v127, s44
	v_cndmask_b32_e64 v108, v89, v127, s46
	;; [unrolled: 1-line block ×21, first 2 shown]
	v_div_fmas_f64 v[1:2], v[1:2], v[123:124], v[79:80]
	v_cndmask_b32_e64 v13, v128, v88, s25
	v_cndmask_b32_e64 v14, v108, v87, s25
	;; [unrolled: 1-line block ×21, first 2 shown]
	v_div_fixup_f64 v[1:2], v[1:2], v[105:106], v[99:100]
	v_cndmask_b32_e64 v12, v12, v101, s37
	v_cndmask_b32_e64 v13, v13, v102, s36
	v_cndmask_b32_e64 v14, v14, v101, s36
	v_cndmask_b32_e64 v5, v5, v114, s29
	v_cndmask_b32_e64 v6, v6, v47, s29
	v_cndmask_b32_e64 v133, v11, v125, s41
	v_cndmask_b32_e64 v7, v7, v142, s35
	v_cndmask_b32_e64 v8, v8, v134, s35
	v_cndmask_b32_e64 v9, v9, v142, s33
	v_cndmask_b32_e64 v10, v10, v134, s33
	v_cndmask_b32_e64 v12, v12, v103, s35
	v_cndmask_b32_e64 v13, v13, v104, s33
	v_cndmask_b32_e64 v14, v14, v103, s33
	v_cndmask_b32_e64 v5, v5, v113, s26
	v_cndmask_b32_e64 v6, v6, v46, s26
	v_cndmask_b32_e64 v11, v128, v88, s38
	v_cndmask_b32_e64 v7, v7, v141, s30
	v_cndmask_b32_e64 v8, v8, v133, s30
	v_cndmask_b32_e64 v9, v9, v141, s29
	v_cndmask_b32_e64 v10, v10, v133, s29
	v_cndmask_b32_e64 v5, v5, v93, s27
	v_add_f64 v[3:4], -v[1:2], 1.0
	v_cndmask_b32_e64 v85, v6, v45, s27
	v_cndmask_b32_e64 v86, v12, v119, s30
	;; [unrolled: 1-line block ×21, first 2 shown]
	v_mul_f64 v[5:6], v[5:6], v[3:4]
	v_cndmask_b32_e64 v11, v11, v104, s35
	v_cndmask_b32_e64 v79, v79, v47, s30
	;; [unrolled: 1-line block ×8, first 2 shown]
	v_mul_f64 v[7:8], v[7:8], v[3:4]
	v_cndmask_b32_e64 v13, v86, v120, s24
	v_mul_f64 v[9:10], v[9:10], v[3:4]
	v_mul_f64 v[3:4], v[95:96], v[3:4]
	v_cndmask_b32_e64 v89, v11, v115, s24
	v_cndmask_b32_e64 v11, v14, v93, s6
	;; [unrolled: 1-line block ×4, first 2 shown]
	v_cmp_eq_u32_e32 vcc_lo, 8, v23
	v_cndmask_b32_e64 v79, v89, v118, s6
	v_cndmask_b32_e64 v12, v11, v91, s7
	;; [unrolled: 1-line block ×5, first 2 shown]
	v_cmp_eq_u32_e64 s8, 5, v23
	v_fma_f64 v[5:6], v[11:12], v[1:2], v[5:6]
	v_cndmask_b32_e64 v11, v80, v16, s6
	v_cmp_eq_u32_e64 s6, 7, v23
	v_cndmask_b32_e64 v12, v11, v18, s7
	v_cndmask_b32_e64 v11, v14, v17, s7
	;; [unrolled: 1-line block ×3, first 2 shown]
	v_fma_f64 v[97:98], v[97:98], v[1:2], v[3:4]
	v_cmp_eq_u32_e64 s7, 6, v23
	v_fma_f64 v[85:86], v[11:12], v[1:2], v[7:8]
	v_fma_f64 v[89:90], v[13:14], v[1:2], v[9:10]
	v_cndmask_b32_e32 v111, v91, v6, vcc_lo
	v_cndmask_b32_e32 v123, v44, v5, vcc_lo
	v_cndmask_b32_e64 v112, v93, v6, s6
	v_cndmask_b32_e64 v124, v45, v5, s6
	v_cndmask_b32_e64 v113, v113, v6, s7
	v_cndmask_b32_e64 v125, v46, v5, s7
	v_cndmask_b32_e64 v114, v114, v6, s8
	v_cndmask_b32_e64 v126, v47, v5, s8
	v_cndmask_b32_e64 v94, v94, v6, s9
	v_cndmask_b32_e64 v93, v48, v5, s9
	v_cndmask_b32_e64 v92, v92, v6, s10
	v_cndmask_b32_e64 v91, v49, v5, s10
	v_cndmask_b32_e64 v80, v129, v6, s11
	v_cndmask_b32_e64 v79, v50, v5, s11
	v_cndmask_b32_e64 v82, v82, v6, s12
	v_cndmask_b32_e64 v81, v81, v5, s12
	v_cndmask_b32_e64 v84, v84, v6, s13
	v_cndmask_b32_e64 v83, v83, v5, s13
	v_cndmask_b32_e32 v18, v18, v86, vcc_lo
	v_cndmask_b32_e32 v17, v17, v85, vcc_lo
	v_cndmask_b32_e64 v16, v16, v86, s6
	v_cndmask_b32_e64 v15, v15, v85, s6
	v_cndmask_b32_e64 v14, v140, v86, s7
	v_cndmask_b32_e64 v13, v130, v85, s7
	v_cndmask_b32_e64 v12, v141, v86, s8
	v_cndmask_b32_e64 v11, v133, v85, s8
	v_cndmask_b32_e64 v10, v142, v86, s9
	v_cndmask_b32_e64 v9, v134, v85, s9
	v_cndmask_b32_e64 v8, v143, v86, s10
	v_cndmask_b32_e64 v7, v136, v85, s10
	v_cndmask_b32_e64 v6, v144, v86, s11
	v_cndmask_b32_e64 v5, v137, v85, s11
	v_cndmask_b32_e64 v4, v145, v86, s12
	v_cndmask_b32_e64 v3, v138, v85, s12
	v_cndmask_b32_e64 v2, v146, v86, s13
	v_cndmask_b32_e64 v1, v139, v85, s13
	;; [unrolled: 18-line block ×4, first 2 shown]
	v_mov_b32_e32 v27, v110
	s_waitcnt vmcnt(0)
	buffer_store_dword v21, off, s[0:3], 0 offset:84
.LBB0_72:
	s_or_b32 exec_lo, exec_lo, s49
	buffer_store_dword v24, off, s[0:3], 0 offset:80
	s_and_saveexec_b32 s6, s4
	s_cbranch_execz .LBB0_81
; %bb.73:
	v_mov_b32_e32 v21, v109
	s_mov_b32 s7, 0
	s_branch .LBB0_75
.LBB0_74:                               ;   in Loop: Header=BB0_75 Depth=1
	s_or_b32 exec_lo, exec_lo, s9
	s_waitcnt vmcnt(0)
	v_cmp_gt_i32_e32 vcc_lo, 0, v22
	v_mov_b32_e32 v21, v22
	s_or_b32 s7, vcc_lo, s7
	s_andn2_b32 exec_lo, exec_lo, s7
	s_cbranch_execz .LBB0_81
.LBB0_75:                               ; =>This Inner Loop Header: Depth=1
	v_lshl_add_u32 v24, v21, 2, 0
	v_cmp_eq_u32_e32 vcc_lo, 1, v21
	s_mov_b32 s8, 0
	s_mov_b32 s9, exec_lo
	buffer_load_dword v22, v24, s[0:3], 0 offen offset:40
	v_cndmask_b32_e32 v28, v98, v100, vcc_lo
	v_cndmask_b32_e32 v29, v97, v99, vcc_lo
	v_cmp_eq_u32_e32 vcc_lo, 2, v21
	v_cndmask_b32_e32 v28, v28, v96, vcc_lo
	v_cndmask_b32_e32 v29, v29, v95, vcc_lo
	v_cmp_eq_u32_e32 vcc_lo, 3, v21
	;; [unrolled: 3-line block ×7, first 2 shown]
	v_cndmask_b32_e32 v29, v28, v129, vcc_lo
	v_cndmask_b32_e32 v28, v30, v132, vcc_lo
	v_cmpx_ngt_f64_e32 0, v[28:29]
	s_xor_b32 s9, exec_lo, s9
	s_cbranch_execnz .LBB0_78
; %bb.76:                               ;   in Loop: Header=BB0_75 Depth=1
	s_or_saveexec_b32 s9, s9
	v_mov_b32_e32 v28, 0x50
	s_xor_b32 exec_lo, exec_lo, s9
	s_cbranch_execnz .LBB0_79
.LBB0_77:                               ;   in Loop: Header=BB0_75 Depth=1
	s_or_b32 exec_lo, exec_lo, s9
	s_and_saveexec_b32 s9, s8
	s_cbranch_execz .LBB0_74
	s_branch .LBB0_80
.LBB0_78:                               ;   in Loop: Header=BB0_75 Depth=1
	buffer_load_dword v24, off, s[0:3], 0 offset:80
	s_waitcnt vmcnt(0)
	v_cmp_eq_u32_e32 vcc_lo, -1, v24
                                        ; implicit-def: $vgpr24
	s_and_b32 s8, vcc_lo, exec_lo
	s_or_saveexec_b32 s9, s9
	v_mov_b32_e32 v28, 0x50
	s_xor_b32 exec_lo, exec_lo, s9
	s_cbranch_execz .LBB0_77
.LBB0_79:                               ;   in Loop: Header=BB0_75 Depth=1
	buffer_load_dword v29, off, s[0:3], 0 offset:84
	v_mov_b32_e32 v28, 0x54
	s_or_b32 s8, s8, exec_lo
	s_waitcnt vmcnt(0)
	buffer_store_dword v29, v24, s[0:3], 0 offen offset:40
	s_or_b32 exec_lo, exec_lo, s9
	s_and_saveexec_b32 s9, s8
	s_cbranch_execz .LBB0_74
.LBB0_80:                               ;   in Loop: Header=BB0_75 Depth=1
	buffer_store_dword v21, v28, s[0:3], 0 offen
	s_branch .LBB0_74
.LBB0_81:
	s_or_b32 exec_lo, exec_lo, s6
	s_and_saveexec_b32 s6, s5
	s_cbranch_execz .LBB0_83
; %bb.82:
	v_cmp_gt_f64_e32 vcc_lo, 0, v[19:20]
	v_lshl_add_u32 v19, v25, 2, 0
	v_lshl_add_u32 v20, v27, 2, 0
	;; [unrolled: 1-line block ×3, first 2 shown]
	s_and_b32 s5, s4, vcc_lo
	s_or_b32 s5, s47, s5
	v_cndmask_b32_e64 v21, v26, -1, s5
	buffer_store_dword v27, v19, s[0:3], 0 offen offset:40
	buffer_store_dword v23, v20, s[0:3], 0 offen offset:40
	;; [unrolled: 1-line block ×3, first 2 shown]
.LBB0_83:
	s_or_b32 exec_lo, exec_lo, s6
	buffer_load_dword v29, off, s[0:3], 0 offset:80
	v_mov_b32_e32 v27, 0
	v_mov_b32_e32 v23, 0
	;; [unrolled: 1-line block ×10, first 2 shown]
	s_mov_b32 s13, exec_lo
	s_waitcnt vmcnt(0)
	v_cmpx_lt_i32_e32 -1, v29
	s_cbranch_execz .LBB0_89
; %bb.84:
	v_lshl_add_u32 v19, v29, 2, 0
	v_mov_b32_e32 v21, 0
	v_mov_b32_e32 v25, 0
	;; [unrolled: 1-line block ×4, first 2 shown]
	buffer_load_dword v33, v19, s[0:3], 0 offen offset:40
	v_mov_b32_e32 v26, 0
	v_mov_b32_e32 v24, 0
	s_mov_b32 s14, exec_lo
	s_waitcnt vmcnt(0)
	v_lshl_add_u32 v19, v33, 2, 0
	buffer_load_dword v136, v19, s[0:3], 0 offen offset:40
	v_mov_b32_e32 v19, 0
	v_mov_b32_e32 v20, 0
	s_waitcnt vmcnt(0)
	v_cmpx_lt_i32_e32 -1, v136
	s_cbranch_execz .LBB0_88
; %bb.85:
	v_cmp_eq_u32_e32 vcc_lo, 1, v29
	v_cmp_eq_u32_e64 s5, 2, v29
	v_cmp_eq_u32_e64 s6, 4, v29
	v_cmp_eq_u32_e64 s7, 5, v29
	v_cmp_eq_u32_e64 s8, 7, v29
	v_cndmask_b32_e32 v19, v84, v82, vcc_lo
	v_cndmask_b32_e32 v20, v83, v81, vcc_lo
	;; [unrolled: 1-line block ×5, first 2 shown]
	v_cndmask_b32_e64 v19, v19, v80, s5
	v_cndmask_b32_e32 v24, v89, v87, vcc_lo
	v_cmp_eq_u32_e32 vcc_lo, 3, v29
	v_cndmask_b32_e64 v21, v21, v6, s5
	v_cndmask_b32_e64 v20, v20, v79, s5
	;; [unrolled: 1-line block ×4, first 2 shown]
	v_cndmask_b32_e32 v19, v19, v92, vcc_lo
	v_cndmask_b32_e32 v21, v21, v8, vcc_lo
	v_cndmask_b32_e64 v24, v24, v85, s5
	v_cmp_eq_u32_e64 s5, 6, v29
	v_cndmask_b32_e32 v20, v20, v91, vcc_lo
	v_cndmask_b32_e64 v19, v19, v94, s6
	v_cndmask_b32_e64 v21, v21, v10, s6
	v_cndmask_b32_e32 v22, v22, v7, vcc_lo
	v_cndmask_b32_e32 v23, v23, v102, vcc_lo
	v_cndmask_b32_e64 v20, v20, v93, s6
	v_cndmask_b32_e64 v19, v19, v114, s7
	;; [unrolled: 1-line block ×3, first 2 shown]
	v_cmp_eq_u32_e64 s9, 8, v29
	v_cmp_eq_u32_e64 s10, 6, v33
	v_cndmask_b32_e64 v20, v20, v126, s7
	v_cndmask_b32_e64 v19, v19, v113, s5
	;; [unrolled: 1-line block ×3, first 2 shown]
	v_cmp_eq_u32_e64 s11, 7, v33
	v_cmp_eq_u32_e64 s12, 8, v33
	v_cndmask_b32_e64 v20, v20, v125, s5
	v_cndmask_b32_e64 v19, v19, v112, s8
	;; [unrolled: 1-line block ×3, first 2 shown]
	v_mov_b32_e32 v25, 0
	v_mov_b32_e32 v26, 0
	v_cndmask_b32_e64 v20, v20, v124, s8
	v_cndmask_b32_e64 v30, v19, v111, s9
	;; [unrolled: 1-line block ×4, first 2 shown]
	v_cndmask_b32_e32 v23, v24, v101, vcc_lo
	v_cndmask_b32_e64 v32, v21, v18, s9
	v_cmp_eq_u32_e32 vcc_lo, 1, v33
	v_cndmask_b32_e64 v19, v19, v11, s7
	v_cndmask_b32_e64 v22, v22, v117, s7
	;; [unrolled: 1-line block ×4, first 2 shown]
	v_cmp_eq_u32_e64 s6, 3, v33
	v_cndmask_b32_e64 v19, v19, v13, s5
	v_cndmask_b32_e64 v20, v22, v115, s5
	;; [unrolled: 1-line block ×3, first 2 shown]
	v_cndmask_b32_e32 v22, v2, v4, vcc_lo
	v_cndmask_b32_e32 v23, v83, v81, vcc_lo
	v_cndmask_b32_e64 v19, v19, v15, s8
	v_cndmask_b32_e64 v20, v20, v118, s8
	;; [unrolled: 1-line block ×3, first 2 shown]
	v_cmp_eq_u32_e64 s5, 2, v33
	v_cmp_eq_u32_e64 s7, 4, v33
	v_cndmask_b32_e64 v31, v19, v17, s9
	v_cndmask_b32_e64 v34, v20, v116, s9
	;; [unrolled: 1-line block ×4, first 2 shown]
	v_cndmask_b32_e32 v21, v1, v3, vcc_lo
	v_cndmask_b32_e64 v23, v23, v79, s5
	v_cmp_eq_u32_e64 s8, 5, v33
	v_cndmask_b32_e32 v24, v90, v88, vcc_lo
	v_cndmask_b32_e64 v20, v22, v8, s6
	v_cndmask_b32_e32 v22, v84, v82, vcc_lo
	v_cndmask_b32_e64 v21, v21, v5, s5
	v_cndmask_b32_e64 v23, v23, v91, s6
	;; [unrolled: 1-line block ×7, first 2 shown]
	v_mul_f64 v[37:38], v[33:34], v[29:30]
	v_cndmask_b32_e64 v20, v20, v12, s8
	v_cndmask_b32_e64 v22, v22, v92, s6
	;; [unrolled: 1-line block ×4, first 2 shown]
	v_mul_f64 v[39:40], v[31:32], v[33:34]
	v_cndmask_b32_e64 v20, v20, v14, s10
	v_cndmask_b32_e64 v22, v22, v94, s7
	;; [unrolled: 1-line block ×3, first 2 shown]
	v_mul_f64 v[41:42], v[33:34], v[33:34]
	v_cndmask_b32_e64 v20, v20, v16, s11
	v_cndmask_b32_e64 v22, v22, v114, s8
	;; [unrolled: 1-line block ×7, first 2 shown]
	v_cndmask_b32_e32 v24, v89, v87, vcc_lo
	v_cndmask_b32_e64 v20, v20, v15, s11
	v_cndmask_b32_e64 v21, v21, v112, s11
	;; [unrolled: 1-line block ×10, first 2 shown]
	v_add_f64 v[49:50], v[35:36], -v[31:32]
	v_mov_b32_e32 v23, 0
	v_add_f64 v[45:46], v[43:44], -v[29:30]
	v_cndmask_b32_e64 v19, v20, v117, s8
	v_cndmask_b32_e64 v20, v21, v103, s7
	v_mov_b32_e32 v21, 0
	v_mov_b32_e32 v24, 0
	;; [unrolled: 1-line block ×3, first 2 shown]
	v_cndmask_b32_e64 v19, v19, v115, s10
	v_cndmask_b32_e64 v20, v20, v119, s8
	;; [unrolled: 1-line block ×6, first 2 shown]
	v_mov_b32_e32 v19, 0
	v_mov_b32_e32 v20, 0
	v_cndmask_b32_e64 v47, v47, v122, s12
	s_mov_b32 s12, 0
.LBB0_86:                               ; =>This Inner Loop Header: Depth=1
	v_lshl_add_u32 v137, v136, 2, 0
	v_cmp_eq_u32_e32 vcc_lo, 1, v136
	v_cmp_eq_u32_e64 s5, 2, v136
	v_cmp_eq_u32_e64 s6, 3, v136
	;; [unrolled: 1-line block ×7, first 2 shown]
	buffer_load_dword v136, v137, s[0:3], 0 offen offset:40
	v_cndmask_b32_e32 v143, v84, v82, vcc_lo
	v_cndmask_b32_e32 v144, v83, v81, vcc_lo
	;; [unrolled: 1-line block ×5, first 2 shown]
	v_cndmask_b32_e64 v143, v143, v80, s5
	v_cndmask_b32_e64 v144, v144, v79, s5
	;; [unrolled: 1-line block ×4, first 2 shown]
	v_cndmask_b32_e32 v148, v89, v87, vcc_lo
	v_cndmask_b32_e64 v143, v143, v92, s6
	v_cndmask_b32_e64 v144, v144, v91, s6
	;; [unrolled: 1-line block ×23, first 2 shown]
	v_add_f64 v[137:138], v[33:34], v[47:48]
	v_cndmask_b32_e64 v148, v148, v13, s9
	v_cndmask_b32_e64 v144, v143, v111, s11
	v_cndmask_b32_e64 v143, v146, v123, s11
	v_cndmask_b32_e64 v147, v147, v16, s10
	v_fma_f64 v[141:142], v[47:48], v[47:48], v[41:42]
	v_cndmask_b32_e64 v149, v148, v15, s10
	v_cndmask_b32_e64 v152, v150, v117, s8
	v_add_f64 v[145:146], v[143:144], -v[29:30]
	v_cndmask_b32_e64 v148, v147, v18, s11
	v_cndmask_b32_e64 v151, v151, v119, s8
	;; [unrolled: 1-line block ×4, first 2 shown]
	v_add_f64 v[139:140], v[29:30], v[43:44]
	v_add_f64 v[153:154], v[31:32], v[35:36]
	v_cndmask_b32_e64 v151, v151, v120, s9
	v_add_f64 v[149:150], v[147:148], -v[31:32]
	v_cndmask_b32_e64 v152, v152, v118, s10
	v_fma_f64 v[43:44], v[43:44], v[47:48], v[37:38]
	v_fma_f64 v[35:36], v[35:36], v[47:48], v[39:40]
	v_cndmask_b32_e64 v151, v151, v121, s10
	v_cndmask_b32_e64 v152, v152, v116, s11
	;; [unrolled: 1-line block ×3, first 2 shown]
	v_mul_f64 v[49:50], v[145:146], v[49:50]
	v_add_f64 v[137:138], v[151:152], v[137:138]
	v_fma_f64 v[141:142], v[151:152], v[151:152], v[141:142]
	v_fma_f64 v[43:44], v[151:152], v[143:144], v[43:44]
	;; [unrolled: 1-line block ×3, first 2 shown]
	v_fma_f64 v[45:46], v[149:150], v[45:46], -v[49:50]
	v_add_f64 v[49:50], v[139:140], v[143:144]
	v_add_f64 v[139:140], v[147:148], v[153:154]
	v_fma_f64 v[141:142], v[33:34], v[47:48], v[141:142]
	v_mul_f64 v[153:154], v[137:138], v[45:46]
	v_fma_f64 v[23:24], v[137:138], v[45:46], v[23:24]
	v_fma_f64 v[141:142], v[33:34], v[151:152], v[141:142]
	v_mul_f64 v[49:50], v[49:50], v[153:154]
	v_mul_f64 v[139:140], v[139:140], v[153:154]
	v_fma_f64 v[47:48], v[151:152], v[47:48], v[141:142]
	v_fma_f64 v[43:44], v[43:44], v[45:46], v[49:50]
	;; [unrolled: 1-line block ×3, first 2 shown]
	v_mov_b32_e32 v49, v149
	v_fma_f64 v[19:20], v[45:46], v[47:48], v[19:20]
	v_mov_b32_e32 v45, v145
	v_mov_b32_e32 v47, v151
	;; [unrolled: 1-line block ×5, first 2 shown]
	v_add_f64 v[25:26], v[25:26], v[43:44]
	v_add_f64 v[21:22], v[21:22], v[35:36]
	v_mov_b32_e32 v43, v143
	v_mov_b32_e32 v35, v147
	;; [unrolled: 1-line block ×4, first 2 shown]
	s_waitcnt vmcnt(0)
	v_cmp_gt_i32_e32 vcc_lo, 0, v136
	s_or_b32 s12, vcc_lo, s12
	s_andn2_b32 exec_lo, exec_lo, s12
	s_cbranch_execnz .LBB0_86
; %bb.87:
	s_or_b32 exec_lo, exec_lo, s12
.LBB0_88:
	s_or_b32 exec_lo, exec_lo, s14
.LBB0_89:
	s_or_b32 exec_lo, exec_lo, s13
	s_and_saveexec_b32 s13, s4
	s_cbranch_execz .LBB0_93
; %bb.90:
	v_mov_b32_e32 v27, v109
	s_mov_b32 s14, 0x4ad4b81f
	s_mov_b32 s16, 0
	;; [unrolled: 1-line block ×3, first 2 shown]
.LBB0_91:                               ; =>This Inner Loop Header: Depth=1
	v_lshl_add_u32 v31, v27, 2, 0
	v_cmp_eq_u32_e32 vcc_lo, 1, v27
	v_cmp_eq_u32_e64 s5, 2, v27
	v_cmp_eq_u32_e64 s6, 3, v27
	;; [unrolled: 1-line block ×8, first 2 shown]
	buffer_load_dword v27, v31, s[0:3], 0 offen
	v_cndmask_b32_e32 v28, v98, v100, vcc_lo
	v_cndmask_b32_e32 v29, v97, v99, vcc_lo
	v_cndmask_b32_e64 v28, v28, v96, s5
	v_cndmask_b32_e64 v29, v29, v95, s5
	v_cndmask_b32_e64 v28, v28, v106, s6
	v_cndmask_b32_e64 v29, v29, v105, s6
	v_cndmask_b32_e64 v28, v28, v108, s7
	v_cndmask_b32_e64 v29, v29, v107, s7
	v_cndmask_b32_e64 v28, v28, v127, s8
	v_cndmask_b32_e64 v29, v29, v134, s8
	v_cndmask_b32_e64 v28, v28, v128, s9
	v_cndmask_b32_e64 v29, v29, v133, s9
	v_cndmask_b32_e64 v28, v28, v130, s10
	v_cndmask_b32_e64 v30, v29, v131, s10
	v_cndmask_b32_e64 v29, v28, v129, s11
	v_cndmask_b32_e64 v28, v30, v132, s11
	v_add_f64 v[28:29], -v[28:29], s[14:15]
	v_cndmask_b32_e64 v96, v96, v29, s5
	v_cndmask_b32_e64 v95, v95, v28, s5
	;; [unrolled: 1-line block ×14, first 2 shown]
	v_cndmask_b32_e32 v100, v100, v29, vcc_lo
	v_cndmask_b32_e32 v99, v99, v28, vcc_lo
	v_cndmask_b32_e64 v98, v98, v29, s12
	v_cndmask_b32_e64 v97, v97, v28, s12
	s_waitcnt vmcnt(0)
	v_cmp_gt_i32_e64 s5, 0, v27
	s_or_b32 s16, s5, s16
	s_andn2_b32 exec_lo, exec_lo, s16
	s_cbranch_execnz .LBB0_91
; %bb.92:
	s_or_b32 exec_lo, exec_lo, s16
	v_cmp_eq_u32_e32 vcc_lo, 1, v109
	v_cndmask_b32_e32 v27, v98, v100, vcc_lo
	v_cndmask_b32_e32 v28, v97, v99, vcc_lo
	v_cmp_eq_u32_e32 vcc_lo, 2, v109
	v_cndmask_b32_e32 v27, v27, v96, vcc_lo
	v_cndmask_b32_e32 v28, v28, v95, vcc_lo
	;; [unrolled: 3-line block ×8, first 2 shown]
.LBB0_93:
	s_or_b32 exec_lo, exec_lo, s13
	v_mov_b32_e32 v30, v28
	v_mov_b32_e32 v35, -1
	v_mov_b32_e32 v29, v27
	v_mov_b32_e32 v36, -1
	v_mov_b32_e32 v31, -1
	;; [unrolled: 1-line block ×5, first 2 shown]
	s_and_saveexec_b32 s9, s4
	s_cbranch_execz .LBB0_97
; %bb.94:
	v_mov_b32_e32 v34, v28
	v_mov_b32_e32 v35, -1
	v_mov_b32_e32 v37, v109
	v_mov_b32_e32 v31, -1
	v_mov_b32_e32 v32, -1
	;; [unrolled: 1-line block ×3, first 2 shown]
	v_mov_b32_e32 v33, v27
	s_mov_b32 s10, 0
.LBB0_95:                               ; =>This Inner Loop Header: Depth=1
	v_lshl_add_u32 v29, v37, 2, 0
	buffer_load_dword v38, v29, s[0:3], 0 offen
	s_waitcnt vmcnt(0)
	v_cmp_gt_i32_e32 vcc_lo, 0, v38
	v_cndmask_b32_e32 v39, v38, v109, vcc_lo
	v_cmp_eq_u32_e64 s5, 1, v39
	v_cmp_eq_u32_e64 s6, 8, v39
	v_cndmask_b32_e64 v29, v98, v100, s5
	v_cndmask_b32_e64 v30, v97, v99, s5
	v_cmp_eq_u32_e64 s5, 2, v39
	v_cndmask_b32_e64 v29, v29, v96, s5
	v_cndmask_b32_e64 v30, v30, v95, s5
	;; [unrolled: 3-line block ×7, first 2 shown]
	v_mov_b32_e32 v29, v33
	v_mov_b32_e32 v30, v34
	v_cndmask_b32_e64 v34, v40, v129, s6
	v_cndmask_b32_e64 v33, v41, v132, s6
	v_cmp_le_f64_e64 s5, 0, v[29:30]
	v_cmp_gt_f64_e64 s7, 0, v[29:30]
	v_cmp_gt_f64_e64 s6, 0, v[33:34]
	v_cmp_le_f64_e64 s8, 0, v[33:34]
	s_and_b32 s5, s5, s6
	s_and_b32 s6, s7, s8
	v_cndmask_b32_e64 v32, v32, v39, s5
	v_cndmask_b32_e64 v36, v36, v39, s6
	;; [unrolled: 1-line block ×4, first 2 shown]
	v_mov_b32_e32 v37, v38
	s_or_b32 s10, vcc_lo, s10
	s_andn2_b32 exec_lo, exec_lo, s10
	s_cbranch_execnz .LBB0_95
; %bb.96:
	s_or_b32 exec_lo, exec_lo, s10
.LBB0_97:
	s_or_b32 exec_lo, exec_lo, s9
	v_mov_b32_e32 v34, -1
	v_cmp_lt_i32_e64 s5, -1, v35
	v_mov_b32_e32 v37, -1
	v_mov_b32_e32 v33, -1
	s_and_saveexec_b32 s47, s5
	s_cbranch_execz .LBB0_99
; %bb.98:
	v_cmp_eq_u32_e64 s8, 1, v32
	v_cmp_eq_u32_e64 s22, 1, v35
	;; [unrolled: 1-line block ×5, first 2 shown]
	v_cndmask_b32_e64 v33, v98, v100, s8
	v_cndmask_b32_e64 v37, v98, v100, s22
	v_cndmask_b32_e64 v38, v97, v99, s8
	v_cndmask_b32_e64 v39, v97, v99, s22
	v_cmp_eq_u32_e64 s23, 3, v35
	v_cndmask_b32_e64 v33, v33, v96, s13
	v_cndmask_b32_e64 v37, v37, v96, s16
	;; [unrolled: 1-line block ×4, first 2 shown]
	v_cmp_eq_u32_e64 s15, 4, v32
	v_cndmask_b32_e64 v33, v33, v106, s19
	v_cndmask_b32_e64 v37, v37, v106, s23
	;; [unrolled: 1-line block ×3, first 2 shown]
	v_cmp_eq_u32_e64 s14, 4, v35
	v_cndmask_b32_e64 v39, v39, v105, s23
	v_cndmask_b32_e64 v33, v33, v108, s15
	v_cmp_eq_u32_e64 s17, 5, v32
	v_cndmask_b32_e64 v38, v38, v107, s15
	v_cndmask_b32_e64 v37, v37, v108, s14
	;; [unrolled: 3-line block ×9, first 2 shown]
	v_cndmask_b32_e64 v37, v32, v132, s21
	v_cmp_eq_u32_e64 s45, 1, v110
	v_cndmask_b32_e64 v40, v40, v129, s11
	v_cndmask_b32_e64 v39, v39, v132, s11
	v_cmp_eq_u32_e64 s46, 0, v110
	v_add_f64 v[41:42], -v[37:38], 0
	v_cmp_eq_u32_e64 s43, 3, v110
	v_cmp_eq_u32_e64 s44, 2, v110
	v_add_f64 v[43:44], v[39:40], -v[37:38]
	v_cmp_eq_u32_e64 s25, 1, v31
	v_cmp_eq_u32_e64 s38, 1, v36
	;; [unrolled: 1-line block ×20, first 2 shown]
	v_cndmask_b32_e64 v145, v90, v88, s8
	v_div_scale_f64 v[45:46], null, v[43:44], v[43:44], v[41:42]
	v_div_scale_f64 v[49:50], vcc_lo, v[41:42], v[43:44], v[41:42]
	v_cndmask_b32_e64 v146, v89, v87, s8
	v_cndmask_b32_e64 v143, v90, v88, s22
	;; [unrolled: 1-line block ×11, first 2 shown]
	v_rcp_f64_e32 v[32:33], v[45:46]
	v_fma_f64 v[47:48], -v[45:46], v[32:33], 1.0
	v_fma_f64 v[32:33], v[32:33], v[47:48], v[32:33]
	v_fma_f64 v[47:48], -v[45:46], v[32:33], 1.0
	v_fma_f64 v[47:48], v[32:33], v[47:48], v[32:33]
	buffer_load_dword v33, v135, s[0:3], 0 offen
	v_cndmask_b32_e64 v32, v84, v82, s8
	v_cndmask_b32_e64 v32, v32, v80, s13
	v_cndmask_b32_e64 v32, v32, v92, s19
	v_cndmask_b32_e64 v32, v32, v94, s15
	v_mul_f64 v[135:136], v[49:50], v[47:48]
	v_cndmask_b32_e64 v32, v32, v114, s17
	v_cndmask_b32_e64 v32, v32, v113, s18
	;; [unrolled: 1-line block ×3, first 2 shown]
	v_fma_f64 v[45:46], -v[45:46], v[135:136], v[49:50]
	v_div_fmas_f64 v[45:46], v[45:46], v[47:48], v[135:136]
	v_cmp_eq_u32_e32 vcc_lo, 8, v110
	v_div_fixup_f64 v[135:136], v[45:46], v[43:44], v[41:42]
	v_cndmask_b32_e64 v41, v83, v81, s8
	v_cndmask_b32_e64 v42, v84, v82, s22
	;; [unrolled: 1-line block ×14, first 2 shown]
	v_add_f64 v[137:138], -v[135:136], 1.0
	v_cndmask_b32_e64 v43, v44, v114, s9
	v_cndmask_b32_e64 v32, v32, v126, s9
	v_cndmask_b32_e64 v41, v41, v125, s18
	v_cndmask_b32_e64 v43, v43, v113, s10
	v_cndmask_b32_e64 v32, v32, v125, s10
	v_cndmask_b32_e64 v41, v41, v124, s20
	v_cndmask_b32_e64 v43, v43, v112, s12
	v_cndmask_b32_e64 v32, v32, v124, s12
	v_cndmask_b32_e64 v41, v41, v123, s21
	v_cndmask_b32_e64 v44, v43, v111, s11
	v_cndmask_b32_e64 v43, v32, v123, s11
	v_mul_f64 v[37:38], v[37:38], v[137:138]
	v_mul_f64 v[41:42], v[41:42], v[137:138]
	v_fma_f64 v[141:142], v[39:40], v[135:136], v[37:38]
	v_fma_f64 v[139:140], v[43:44], v[135:136], v[41:42]
	v_cndmask_b32_e64 v37, v99, v141, s45
	v_cndmask_b32_e64 v32, v97, v141, s46
	;; [unrolled: 1-line block ×40, first 2 shown]
	v_cndmask_b32_e32 v44, v132, v141, vcc_lo
	v_cndmask_b32_e32 v97, v129, v142, vcc_lo
	v_cndmask_b32_e64 v98, v98, v50, s27
	v_cndmask_b32_e64 v31, v99, v43, s27
	v_cndmask_b32_e64 v100, v100, v50, s6
	v_cndmask_b32_e64 v105, v105, v43, s6
	v_cndmask_b32_e64 v141, v2, v4, s8
	v_cndmask_b32_e64 v99, v98, v97, s28
	v_cndmask_b32_e64 v98, v31, v44, s28
	v_cndmask_b32_e64 v106, v100, v97, s7
	v_cndmask_b32_e64 v105, v105, v44, s7
	v_cndmask_b32_e64 v142, v1, v3, s8
	v_cndmask_b32_e64 v141, v141, v6, s13
	v_add_f64 v[107:108], -v[98:99], 0
	v_cndmask_b32_e32 v123, v123, v139, vcc_lo
	v_add_f64 v[127:128], v[105:106], -v[98:99]
	v_cndmask_b32_e64 v142, v142, v5, s13
	v_cndmask_b32_e64 v141, v141, v8, s19
	;; [unrolled: 1-line block ×21, first 2 shown]
	v_div_scale_f64 v[129:130], null, v[127:128], v[127:128], v[107:108]
	v_cndmask_b32_e64 v139, v139, v5, s16
	v_cndmask_b32_e64 v100, v100, v8, s23
	;; [unrolled: 1-line block ×12, first 2 shown]
	v_rcp_f64_e32 v[131:132], v[129:130]
	v_cndmask_b32_e64 v139, v139, v13, s10
	v_cndmask_b32_e64 v100, v100, v16, s12
	;; [unrolled: 1-line block ×3, first 2 shown]
	v_fma_f64 v[133:134], -v[129:130], v[131:132], 1.0
	v_fma_f64 v[131:132], v[131:132], v[133:134], v[131:132]
	s_waitcnt vmcnt(0)
	v_lshl_add_u32 v31, v33, 2, 0
	v_cndmask_b32_e64 v133, v141, v14, s18
	v_cndmask_b32_e64 v134, v142, v13, s18
	;; [unrolled: 1-line block ×4, first 2 shown]
	buffer_load_dword v31, v31, s[0:3], 0 offen
	v_cndmask_b32_e64 v145, v143, v104, s14
	v_cndmask_b32_e64 v133, v133, v16, s20
	;; [unrolled: 1-line block ×12, first 2 shown]
	v_mul_f64 v[133:134], v[133:134], v[137:138]
	v_cndmask_b32_e64 v143, v141, v118, s20
	v_cndmask_b32_e64 v147, v142, v121, s20
	v_fma_f64 v[141:142], -v[129:130], v[131:132], 1.0
	v_cndmask_b32_e64 v145, v145, v115, s10
	v_cndmask_b32_e64 v146, v146, v120, s10
	;; [unrolled: 1-line block ×4, first 2 shown]
	v_cmp_eq_u32_e64 s9, 4, v33
	v_cmp_eq_u32_e64 s10, 3, v33
	;; [unrolled: 1-line block ×3, first 2 shown]
	v_mul_f64 v[137:138], v[143:144], v[137:138]
	v_cndmask_b32_e64 v144, v100, v18, s11
	v_cndmask_b32_e64 v143, v139, v17, s11
	;; [unrolled: 1-line block ×4, first 2 shown]
	v_cmp_eq_u32_e64 s12, 1, v33
	v_fma_f64 v[133:134], v[143:144], v[135:136], v[133:134]
	v_div_scale_f64 v[143:144], s8, v[107:108], v[127:128], v[107:108]
	v_fma_f64 v[131:132], v[131:132], v[141:142], v[131:132]
	v_cndmask_b32_e64 v142, v100, v116, s11
	v_cndmask_b32_e64 v141, v139, v122, s11
	v_cndmask_b32_e32 v100, v111, v140, vcc_lo
	v_cmp_eq_u32_e64 s11, 2, v33
	v_fma_f64 v[135:136], v[141:142], v[135:136], v[137:138]
	v_cndmask_b32_e64 v137, v112, v140, s39
	v_cndmask_b32_e32 v17, v17, v133, vcc_lo
	v_cndmask_b32_e64 v15, v15, v133, s39
	v_cndmask_b32_e64 v138, v13, v133, s40
	v_mul_f64 v[111:112], v[143:144], v[131:132]
	v_cndmask_b32_e64 v139, v11, v133, s41
	v_cndmask_b32_e64 v140, v9, v133, s42
	;; [unrolled: 1-line block ×6, first 2 shown]
	v_cndmask_b32_e32 v18, v18, v134, vcc_lo
	v_cndmask_b32_e64 v16, v16, v134, s39
	v_cndmask_b32_e64 v146, v14, v134, s40
	v_cndmask_b32_e64 v147, v12, v134, s41
	v_cndmask_b32_e64 v148, v10, v134, s42
	v_cndmask_b32_e64 v149, v8, v134, s43
	v_cndmask_b32_e64 v150, v6, v134, s44
	v_cndmask_b32_e64 v151, v4, v134, s45
	v_cndmask_b32_e64 v134, v2, v134, s46
	v_cndmask_b32_e32 v122, v122, v135, vcc_lo
	v_cndmask_b32_e32 v116, v116, v136, vcc_lo
	s_mov_b32 vcc_lo, s8
	v_cndmask_b32_e64 v3, v84, v82, s38
	v_cndmask_b32_e64 v5, v84, v82, s25
	;; [unrolled: 1-line block ×3, first 2 shown]
	v_fma_f64 v[1:2], -v[129:130], v[111:112], v[143:144]
	v_cndmask_b32_e64 v4, v83, v81, s38
	v_cndmask_b32_e64 v3, v3, v80, s34
	;; [unrolled: 1-line block ×21, first 2 shown]
	v_div_fmas_f64 v[1:2], v[1:2], v[131:132], v[111:112]
	v_cndmask_b32_e64 v4, v4, v91, s37
	v_cndmask_b32_e64 v3, v3, v94, s35
	;; [unrolled: 1-line block ×21, first 2 shown]
	v_div_fixup_f64 v[1:2], v[1:2], v[127:128], v[107:108]
	v_cndmask_b32_e64 v12, v12, v101, s37
	v_cndmask_b32_e64 v13, v13, v102, s36
	;; [unrolled: 1-line block ×21, first 2 shown]
	v_add_f64 v[3:4], -v[1:2], 1.0
	v_cndmask_b32_e64 v9, v9, v147, s29
	v_cndmask_b32_e64 v10, v10, v139, s29
	;; [unrolled: 1-line block ×21, first 2 shown]
	v_mul_f64 v[5:6], v[5:6], v[3:4]
	v_cndmask_b32_e64 v12, v8, v15, s27
	v_cndmask_b32_e64 v9, v9, v118, s27
	;; [unrolled: 1-line block ×11, first 2 shown]
	v_mul_f64 v[7:8], v[7:8], v[3:4]
	v_cndmask_b32_e64 v13, v90, v120, s24
	v_mul_f64 v[9:10], v[9:10], v[3:4]
	v_mul_f64 v[3:4], v[98:99], v[3:4]
	v_cndmask_b32_e64 v107, v11, v115, s24
	v_cndmask_b32_e64 v11, v14, v137, s6
	;; [unrolled: 1-line block ×4, first 2 shown]
	v_cmp_eq_u32_e32 vcc_lo, 8, v33
	v_cndmask_b32_e64 v85, v107, v118, s6
	v_cndmask_b32_e64 v12, v11, v100, s7
	;; [unrolled: 1-line block ×5, first 2 shown]
	v_cmp_eq_u32_e64 s8, 5, v33
	v_fma_f64 v[5:6], v[11:12], v[1:2], v[5:6]
	v_cndmask_b32_e64 v11, v86, v16, s6
	v_cmp_eq_u32_e64 s6, 7, v33
	v_cndmask_b32_e64 v12, v11, v18, s7
	v_cndmask_b32_e64 v11, v14, v17, s7
	;; [unrolled: 1-line block ×3, first 2 shown]
	v_fma_f64 v[135:136], v[105:106], v[1:2], v[3:4]
	v_cmp_eq_u32_e64 s7, 6, v33
	v_fma_f64 v[85:86], v[11:12], v[1:2], v[7:8]
	v_fma_f64 v[89:90], v[13:14], v[1:2], v[9:10]
	v_cndmask_b32_e32 v111, v100, v6, vcc_lo
	v_cndmask_b32_e32 v123, v123, v5, vcc_lo
	v_cndmask_b32_e64 v112, v137, v6, s6
	v_cndmask_b32_e64 v124, v124, v5, s6
	v_cndmask_b32_e64 v113, v113, v6, s7
	v_cndmask_b32_e64 v125, v125, v5, s7
	v_cndmask_b32_e64 v114, v114, v6, s8
	v_cndmask_b32_e64 v126, v126, v5, s8
	v_cndmask_b32_e64 v94, v94, v6, s9
	v_cndmask_b32_e64 v93, v93, v5, s9
	v_cndmask_b32_e64 v92, v92, v6, s10
	v_cndmask_b32_e64 v91, v91, v5, s10
	v_cndmask_b32_e64 v80, v80, v6, s11
	v_cndmask_b32_e64 v79, v79, v5, s11
	v_cndmask_b32_e64 v82, v82, v6, s12
	v_cndmask_b32_e64 v81, v81, v5, s12
	v_cndmask_b32_e64 v84, v84, v6, s13
	v_cndmask_b32_e64 v83, v83, v5, s13
	v_cndmask_b32_e32 v18, v18, v86, vcc_lo
	v_cndmask_b32_e32 v17, v17, v85, vcc_lo
	v_cndmask_b32_e64 v16, v16, v86, s6
	v_cndmask_b32_e64 v15, v15, v85, s6
	v_cndmask_b32_e64 v14, v146, v86, s7
	v_cndmask_b32_e64 v13, v138, v85, s7
	v_cndmask_b32_e64 v12, v147, v86, s8
	v_cndmask_b32_e64 v11, v139, v85, s8
	v_cndmask_b32_e64 v10, v148, v86, s9
	v_cndmask_b32_e64 v9, v140, v85, s9
	v_cndmask_b32_e64 v8, v149, v86, s10
	v_cndmask_b32_e64 v7, v141, v85, s10
	v_cndmask_b32_e64 v6, v150, v86, s11
	v_cndmask_b32_e64 v5, v142, v85, s11
	v_cndmask_b32_e64 v4, v151, v86, s12
	v_cndmask_b32_e64 v3, v145, v85, s12
	v_cndmask_b32_e64 v2, v134, v86, s13
	v_cndmask_b32_e64 v1, v133, v85, s13
	;; [unrolled: 18-line block ×4, first 2 shown]
	v_mov_b32_e32 v37, v110
	s_waitcnt vmcnt(0)
	buffer_store_dword v31, off, s[0:3], 0 offset:92
.LBB0_99:
	s_or_b32 exec_lo, exec_lo, s47
	buffer_store_dword v34, off, s[0:3], 0 offset:88
	s_and_saveexec_b32 s6, s4
	s_cbranch_execz .LBB0_108
; %bb.100:
	s_mov_b32 s4, 0
	s_branch .LBB0_102
.LBB0_101:                              ;   in Loop: Header=BB0_102 Depth=1
	s_or_b32 exec_lo, exec_lo, s8
	s_waitcnt vmcnt(0)
	v_cmp_gt_i32_e32 vcc_lo, 0, v31
	v_mov_b32_e32 v109, v31
	s_or_b32 s4, vcc_lo, s4
	s_andn2_b32 exec_lo, exec_lo, s4
	s_cbranch_execz .LBB0_108
.LBB0_102:                              ; =>This Inner Loop Header: Depth=1
	v_lshl_add_u32 v32, v109, 2, 0
	v_cmp_eq_u32_e32 vcc_lo, 1, v109
	s_mov_b32 s7, 0
	s_mov_b32 s8, exec_lo
	buffer_load_dword v31, v32, s[0:3], 0 offen
	v_cndmask_b32_e32 v34, v98, v100, vcc_lo
	v_cndmask_b32_e32 v38, v97, v99, vcc_lo
	v_cmp_eq_u32_e32 vcc_lo, 2, v109
	v_cndmask_b32_e32 v34, v34, v96, vcc_lo
	v_cndmask_b32_e32 v38, v38, v95, vcc_lo
	v_cmp_eq_u32_e32 vcc_lo, 3, v109
	;; [unrolled: 3-line block ×7, first 2 shown]
	v_cndmask_b32_e32 v39, v34, v129, vcc_lo
	v_cndmask_b32_e32 v38, v38, v132, vcc_lo
	v_cmpx_ngt_f64_e32 0, v[38:39]
	s_xor_b32 s8, exec_lo, s8
	s_cbranch_execnz .LBB0_105
; %bb.103:                              ;   in Loop: Header=BB0_102 Depth=1
	s_or_saveexec_b32 s8, s8
	v_mov_b32_e32 v34, 0x58
	s_xor_b32 exec_lo, exec_lo, s8
	s_cbranch_execnz .LBB0_106
.LBB0_104:                              ;   in Loop: Header=BB0_102 Depth=1
	s_or_b32 exec_lo, exec_lo, s8
	s_and_saveexec_b32 s8, s7
	s_cbranch_execz .LBB0_101
	s_branch .LBB0_107
.LBB0_105:                              ;   in Loop: Header=BB0_102 Depth=1
	buffer_load_dword v32, off, s[0:3], 0 offset:88
	s_waitcnt vmcnt(0)
	v_cmp_eq_u32_e32 vcc_lo, -1, v32
                                        ; implicit-def: $vgpr32
	s_and_b32 s7, vcc_lo, exec_lo
	s_or_saveexec_b32 s8, s8
	v_mov_b32_e32 v34, 0x58
	s_xor_b32 exec_lo, exec_lo, s8
	s_cbranch_execz .LBB0_104
.LBB0_106:                              ;   in Loop: Header=BB0_102 Depth=1
	buffer_load_dword v38, off, s[0:3], 0 offset:92
	v_mov_b32_e32 v34, 0x5c
	s_or_b32 s7, s7, exec_lo
	s_waitcnt vmcnt(0)
	buffer_store_dword v38, v32, s[0:3], 0 offen
	s_or_b32 exec_lo, exec_lo, s8
	s_and_saveexec_b32 s8, s7
	s_cbranch_execz .LBB0_101
.LBB0_107:                              ;   in Loop: Header=BB0_102 Depth=1
	buffer_store_dword v109, v34, s[0:3], 0 offen
	s_branch .LBB0_101
.LBB0_108:
	s_or_b32 exec_lo, exec_lo, s6
	s_and_saveexec_b32 s4, s5
	s_cbranch_execz .LBB0_110
; %bb.109:
	v_max_f64 v[27:28], v[27:28], v[27:28]
	v_max_f64 v[29:30], v[29:30], v[29:30]
	v_min_f64 v[27:28], v[29:30], v[27:28]
	v_lshl_add_u32 v29, v35, 2, 0
	v_lshl_add_u32 v30, v37, 2, 0
	v_cmp_ngt_f64_e32 vcc_lo, 0, v[27:28]
	v_lshl_add_u32 v28, v33, 2, 0
	v_cndmask_b32_e32 v27, -1, v36, vcc_lo
	buffer_store_dword v37, v29, s[0:3], 0 offen
	buffer_store_dword v33, v30, s[0:3], 0 offen
	;; [unrolled: 1-line block ×3, first 2 shown]
.LBB0_110:
	s_or_b32 exec_lo, exec_lo, s4
	buffer_load_dword v27, off, s[0:3], 0 offset:88
	s_mov_b32 s12, exec_lo
	s_waitcnt vmcnt(0)
	v_cmpx_lt_i32_e32 -1, v27
	s_cbranch_execz .LBB0_114
; %bb.111:
	v_mov_b32_e32 v28, v27
	s_mov_b32 s13, 0
.LBB0_112:                              ; =>This Inner Loop Header: Depth=1
	v_lshl_add_u32 v34, v28, 2, 0
	v_cmp_eq_u32_e32 vcc_lo, 1, v28
	v_cmp_eq_u32_e64 s4, 2, v28
	v_cmp_eq_u32_e64 s5, 3, v28
	;; [unrolled: 1-line block ×8, first 2 shown]
	buffer_load_dword v28, v34, s[0:3], 0 offen
	v_cndmask_b32_e32 v29, v84, v82, vcc_lo
	v_cndmask_b32_e32 v30, v83, v81, vcc_lo
	;; [unrolled: 1-line block ×4, first 2 shown]
	v_cndmask_b32_e64 v29, v29, v80, s4
	v_cndmask_b32_e64 v30, v30, v79, s4
	;; [unrolled: 1-line block ×27, first 2 shown]
	v_add_f64 v[29:30], -v[29:30], 1.0
	v_cndmask_b32_e64 v31, v33, v17, s10
	v_add_f64 v[29:30], v[29:30], -v[31:32]
	v_cndmask_b32_e64 v86, v86, v30, s4
	v_cndmask_b32_e64 v85, v85, v29, s4
	;; [unrolled: 1-line block ×14, first 2 shown]
	v_cndmask_b32_e32 v88, v88, v30, vcc_lo
	v_cndmask_b32_e32 v87, v87, v29, vcc_lo
	v_cndmask_b32_e64 v90, v90, v30, s11
	v_cndmask_b32_e64 v89, v89, v29, s11
	s_waitcnt vmcnt(0)
	v_cmp_gt_i32_e64 s4, 0, v28
	s_or_b32 s13, s4, s13
	s_andn2_b32 exec_lo, exec_lo, s13
	s_cbranch_execnz .LBB0_112
; %bb.113:
	s_or_b32 exec_lo, exec_lo, s13
.LBB0_114:
	s_or_b32 exec_lo, exec_lo, s12
	s_mov_b32 s12, exec_lo
	v_cmpx_lt_i32_e32 -1, v27
	s_cbranch_execz .LBB0_120
; %bb.115:
	v_lshl_add_u32 v28, v27, 2, 0
	s_mov_b32 s13, exec_lo
	buffer_load_dword v31, v28, s[0:3], 0 offen
	s_waitcnt vmcnt(0)
	v_lshl_add_u32 v28, v31, 2, 0
	buffer_load_dword v49, v28, s[0:3], 0 offen
	s_waitcnt vmcnt(0)
	v_cmpx_lt_i32_e32 -1, v49
	s_cbranch_execz .LBB0_119
; %bb.116:
	v_cmp_eq_u32_e32 vcc_lo, 1, v27
	v_cmp_eq_u32_e64 s4, 2, v27
	v_cmp_eq_u32_e64 s5, 4, v27
	;; [unrolled: 1-line block ×4, first 2 shown]
	v_cndmask_b32_e32 v29, v83, v81, vcc_lo
	v_cndmask_b32_e32 v28, v84, v82, vcc_lo
	;; [unrolled: 1-line block ×6, first 2 shown]
	v_cmp_eq_u32_e32 vcc_lo, 3, v27
	v_cndmask_b32_e64 v29, v29, v79, s4
	v_cndmask_b32_e64 v32, v32, v5, s4
	;; [unrolled: 1-line block ×5, first 2 shown]
	v_cndmask_b32_e32 v29, v29, v91, vcc_lo
	v_cndmask_b32_e64 v34, v34, v85, s4
	v_cndmask_b32_e32 v32, v32, v7, vcc_lo
	v_cndmask_b32_e32 v33, v33, v102, vcc_lo
	;; [unrolled: 1-line block ×3, first 2 shown]
	v_cndmask_b32_e64 v29, v29, v93, s5
	v_cndmask_b32_e32 v30, v30, v8, vcc_lo
	v_cmp_eq_u32_e64 s4, 6, v27
	v_cmp_eq_u32_e64 s8, 8, v27
	v_cndmask_b32_e64 v27, v32, v9, s5
	v_cndmask_b32_e64 v29, v29, v126, s6
	;; [unrolled: 1-line block ×3, first 2 shown]
	v_cndmask_b32_e32 v33, v34, v101, vcc_lo
	v_cndmask_b32_e64 v28, v28, v94, s5
	v_cndmask_b32_e64 v30, v30, v10, s5
	;; [unrolled: 1-line block ×10, first 2 shown]
	v_cmp_eq_u32_e32 vcc_lo, 1, v31
	v_cndmask_b32_e64 v28, v28, v113, s4
	v_cndmask_b32_e64 v30, v30, v14, s4
	;; [unrolled: 1-line block ×5, first 2 shown]
	v_cndmask_b32_e32 v34, v2, v4, vcc_lo
	v_cndmask_b32_e64 v33, v33, v120, s4
	v_cmp_eq_u32_e64 s4, 2, v31
	v_cmp_eq_u32_e64 s5, 3, v31
	v_cndmask_b32_e32 v36, v84, v82, vcc_lo
	v_cndmask_b32_e32 v37, v83, v81, vcc_lo
	v_cndmask_b32_e64 v35, v33, v121, s7
	v_cndmask_b32_e64 v34, v34, v6, s4
	v_cmp_eq_u32_e64 s6, 4, v31
	v_cndmask_b32_e64 v28, v28, v112, s7
	v_cndmask_b32_e64 v30, v30, v16, s7
	;; [unrolled: 1-line block ×4, first 2 shown]
	v_cndmask_b32_e32 v34, v1, v3, vcc_lo
	v_cndmask_b32_e64 v32, v32, v118, s7
	v_cndmask_b32_e64 v36, v36, v80, s4
	;; [unrolled: 1-line block ×5, first 2 shown]
	v_cmp_eq_u32_e64 s7, 5, v31
	v_cndmask_b32_e64 v36, v36, v92, s5
	v_cndmask_b32_e64 v37, v37, v91, s5
	v_cmp_eq_u32_e64 s9, 6, v31
	v_cndmask_b32_e64 v34, v34, v7, s5
	v_cndmask_b32_e64 v33, v33, v12, s7
	v_cndmask_b32_e64 v36, v36, v94, s6
	v_cndmask_b32_e64 v37, v37, v93, s6
	v_cmp_eq_u32_e64 s10, 7, v31
	v_cndmask_b32_e64 v34, v34, v9, s6
	v_cndmask_b32_e64 v33, v33, v14, s9
	;; [unrolled: 5-line block ×3, first 2 shown]
	v_cndmask_b32_e64 v28, v28, v111, s8
	v_cndmask_b32_e64 v30, v30, v18, s8
	;; [unrolled: 1-line block ×7, first 2 shown]
	v_cndmask_b32_e32 v37, v90, v88, vcc_lo
	v_cndmask_b32_e32 v38, v89, v87, vcc_lo
	v_cndmask_b32_e64 v31, v31, v15, s10
	v_cndmask_b32_e64 v39, v33, v112, s10
	;; [unrolled: 1-line block ×12, first 2 shown]
	v_add_f64 v[47:48], v[33:34], -v[29:30]
	v_cndmask_b32_e64 v45, v36, v104, s6
	v_cndmask_b32_e64 v46, v37, v103, s6
	v_add_f64 v[43:44], v[41:42], -v[27:28]
	v_mul_f64 v[35:36], v[27:28], v[31:32]
	v_mul_f64 v[37:38], v[29:30], v[31:32]
	v_mul_f64 v[39:40], v[31:32], v[31:32]
	v_cndmask_b32_e64 v45, v45, v117, s7
	v_cndmask_b32_e64 v46, v46, v119, s7
	;; [unrolled: 1-line block ×8, first 2 shown]
	s_mov_b32 s11, 0
.LBB0_117:                              ; =>This Inner Loop Header: Depth=1
	v_lshl_add_u32 v95, v49, 2, 0
	v_cmp_eq_u32_e32 vcc_lo, 1, v49
	v_cmp_eq_u32_e64 s4, 2, v49
	v_cmp_eq_u32_e64 s5, 3, v49
	;; [unrolled: 1-line block ×7, first 2 shown]
	buffer_load_dword v49, v95, s[0:3], 0 offen
	v_cndmask_b32_e32 v50, v84, v82, vcc_lo
	v_cndmask_b32_e32 v105, v83, v81, vcc_lo
	;; [unrolled: 1-line block ×5, first 2 shown]
	v_cndmask_b32_e64 v50, v50, v80, s4
	v_cndmask_b32_e64 v105, v105, v79, s4
	;; [unrolled: 1-line block ×3, first 2 shown]
	v_cndmask_b32_e32 v109, v89, v87, vcc_lo
	v_cndmask_b32_e64 v107, v107, v5, s4
	v_cndmask_b32_e64 v50, v50, v92, s5
	;; [unrolled: 1-line block ×18, first 2 shown]
	v_add_f64 v[95:96], v[31:32], v[45:46]
	v_fma_f64 v[99:100], v[45:46], v[45:46], v[39:40]
	v_cndmask_b32_e64 v129, v128, v117, s7
	v_cndmask_b32_e64 v50, v50, v112, s9
	;; [unrolled: 1-line block ×3, first 2 shown]
	v_add_f64 v[97:98], v[27:28], v[41:42]
	v_add_f64 v[131:132], v[29:30], v[33:34]
	v_cndmask_b32_e64 v129, v129, v115, s8
	v_cndmask_b32_e64 v106, v50, v111, s10
	;; [unrolled: 1-line block ×7, first 2 shown]
	v_add_f64 v[107:108], v[105:106], -v[27:28]
	v_cndmask_b32_e64 v50, v50, v119, s7
	v_cndmask_b32_e64 v109, v109, v14, s8
	v_cndmask_b32_e64 v110, v110, v13, s8
	v_cndmask_b32_e64 v130, v129, v116, s10
	v_fma_f64 v[41:42], v[41:42], v[45:46], v[35:36]
	v_cndmask_b32_e64 v50, v50, v120, s8
	v_cndmask_b32_e64 v109, v109, v16, s9
	;; [unrolled: 1-line block ×3, first 2 shown]
	v_fma_f64 v[33:34], v[33:34], v[45:46], v[37:38]
	v_cndmask_b32_e64 v50, v50, v121, s9
	v_cndmask_b32_e64 v110, v109, v18, s10
	;; [unrolled: 1-line block ×4, first 2 shown]
	v_add_f64 v[127:128], v[109:110], -v[29:30]
	v_add_f64 v[95:96], v[129:130], v[95:96]
	v_mul_f64 v[47:48], v[107:108], v[47:48]
	v_fma_f64 v[99:100], v[129:130], v[129:130], v[99:100]
	v_fma_f64 v[41:42], v[129:130], v[105:106], v[41:42]
	;; [unrolled: 1-line block ×3, first 2 shown]
	v_fma_f64 v[43:44], v[127:128], v[43:44], -v[47:48]
	v_add_f64 v[47:48], v[97:98], v[105:106]
	v_add_f64 v[97:98], v[109:110], v[131:132]
	v_fma_f64 v[99:100], v[31:32], v[45:46], v[99:100]
	v_mul_f64 v[131:132], v[95:96], v[43:44]
	v_fma_f64 v[23:24], v[95:96], v[43:44], v[23:24]
	v_fma_f64 v[99:100], v[31:32], v[129:130], v[99:100]
	v_mul_f64 v[47:48], v[47:48], v[131:132]
	v_mul_f64 v[97:98], v[97:98], v[131:132]
	v_fma_f64 v[45:46], v[129:130], v[45:46], v[99:100]
	v_fma_f64 v[41:42], v[41:42], v[43:44], v[47:48]
	;; [unrolled: 1-line block ×3, first 2 shown]
	v_mov_b32_e32 v47, v127
	v_fma_f64 v[19:20], v[43:44], v[45:46], v[19:20]
	v_mov_b32_e32 v43, v107
	v_mov_b32_e32 v45, v129
	;; [unrolled: 1-line block ×5, first 2 shown]
	v_add_f64 v[25:26], v[25:26], v[41:42]
	v_add_f64 v[21:22], v[21:22], v[33:34]
	v_mov_b32_e32 v41, v105
	v_mov_b32_e32 v33, v109
	;; [unrolled: 1-line block ×4, first 2 shown]
	s_waitcnt vmcnt(0)
	v_cmp_gt_i32_e32 vcc_lo, 0, v49
	s_or_b32 s11, vcc_lo, s11
	s_andn2_b32 exec_lo, exec_lo, s11
	s_cbranch_execnz .LBB0_117
; %bb.118:
	s_or_b32 exec_lo, exec_lo, s11
.LBB0_119:
	s_or_b32 exec_lo, exec_lo, s13
.LBB0_120:
	s_or_b32 exec_lo, exec_lo, s12
	s_mov_b32 s5, 0x3fc55555
	s_mov_b32 s4, 0x55555555
	v_mul_f64 v[1:2], v[23:24], s[4:5]
	s_mov_b32 s5, 0x3fa55555
	v_mul_f64 v[3:4], v[25:26], s[4:5]
	v_mul_f64 v[9:10], v[21:22], s[4:5]
	;; [unrolled: 1-line block ×3, first 2 shown]
	v_fma_f64 v[23:24], v[73:74], v[1:2], 0
	v_mul_f64 v[5:6], v[61:62], v[3:4]
	v_mul_f64 v[7:8], v[77:78], v[3:4]
	;; [unrolled: 1-line block ×3, first 2 shown]
	v_fma_f64 v[5:6], v[59:60], v[1:2], v[5:6]
	v_fma_f64 v[7:8], v[51:52], v[1:2], v[7:8]
	;; [unrolled: 1-line block ×12, first 2 shown]
.LBB0_121:
	s_or_b32 exec_lo, exec_lo, s48
	v_mad_u64_u32 v[13:14], null, 0x48, v57, 0
	v_mov_b32_e32 v3, 0
	v_mov_b32_e32 v7, v21
	;; [unrolled: 1-line block ×11, first 2 shown]
	v_mad_u64_u32 v[5:6], null, 0x48, v58, v[1:2]
	v_mov_b32_e32 v1, v23
	v_mov_b32_e32 v2, v24
	;; [unrolled: 1-line block ×5, first 2 shown]
	v_cmp_lt_u64_e32 vcc_lo, s[52:53], v[13:14]
	v_mov_b32_e32 v13, v19
	v_mov_b32_e32 v14, v20
	s_and_saveexec_b32 s4, vcc_lo
	s_cbranch_execz .LBB0_123
; %bb.122:
	v_mov_b32_e32 v1, 0
	v_mov_b32_e32 v5, 0
	;; [unrolled: 1-line block ×16, first 2 shown]
.LBB0_123:
	s_or_b32 exec_lo, exec_lo, s4
	v_mbcnt_lo_u32_b32 v17, -1, 0
	s_mov_b64 s[4:5], 1
	s_waitcnt_vscnt null, 0x0
	s_barrier
	buffer_gl0_inv
.LBB0_124:                              ; =>This Inner Loop Header: Depth=1
	v_xor_b32_e32 v18, s4, v17
	v_cmp_gt_u64_e64 s6, s[4:5], 31
	s_lshl_b64 s[4:5], s[4:5], 1
	v_cmp_gt_i32_e32 vcc_lo, 32, v18
	v_cndmask_b32_e32 v18, v17, v18, vcc_lo
	s_and_b32 vcc_lo, exec_lo, s6
	v_lshlrev_b32_e32 v33, 2, v18
	ds_bpermute_b32 v18, v33, v15
	ds_bpermute_b32 v19, v33, v16
	;; [unrolled: 1-line block ×16, first 2 shown]
	s_waitcnt lgkmcnt(14)
	v_add_f64 v[15:16], v[15:16], v[18:19]
	s_waitcnt lgkmcnt(12)
	v_add_f64 v[11:12], v[11:12], v[20:21]
	s_waitcnt lgkmcnt(10)
	v_add_f64 v[9:10], v[9:10], v[22:23]
	s_waitcnt lgkmcnt(8)
	v_add_f64 v[3:4], v[3:4], v[24:25]
	s_waitcnt lgkmcnt(6)
	v_add_f64 v[1:2], v[1:2], v[26:27]
	s_waitcnt lgkmcnt(4)
	v_add_f64 v[5:6], v[5:6], v[28:29]
	s_waitcnt lgkmcnt(2)
	v_add_f64 v[7:8], v[7:8], v[30:31]
	s_waitcnt lgkmcnt(0)
	v_add_f64 v[13:14], v[13:14], v[32:33]
	s_cbranch_vccz .LBB0_124
; %bb.125:
	s_mov_b32 s4, exec_lo
	v_cmpx_eq_u32_e32 0, v0
	s_cbranch_execz .LBB0_127
; %bb.126:
	v_lshrrev_b32_e32 v17, 3, v0
	ds_write2_b64 v17, v[1:2], v[5:6] offset1:2
	ds_write2_b64 v17, v[7:8], v[13:14] offset0:4 offset1:6
	ds_write2_b64 v17, v[15:16], v[11:12] offset0:8 offset1:10
	;; [unrolled: 1-line block ×3, first 2 shown]
.LBB0_127:
	s_or_b32 exec_lo, exec_lo, s4
	s_waitcnt lgkmcnt(0)
	s_barrier
	buffer_gl0_inv
	s_mov_b32 s4, exec_lo
	v_cmpx_gt_u32_e32 8, v0
	s_cbranch_execz .LBB0_129
; %bb.128:
	v_lshlrev_b32_e32 v1, 4, v0
	v_lshlrev_b32_e32 v0, 3, v0
	s_add_u32 s4, s50, s52
	s_addc_u32 s5, s51, s53
	ds_read_b64 v[1:2], v1
	s_waitcnt lgkmcnt(0)
	global_store_dwordx2 v0, v[1:2], s[4:5]
.LBB0_129:
	s_endpgm
	.section	.rodata,"a",@progbits
	.p2align	6, 0x0
	.amdhsa_kernel _ZN8rajaperf4apps16intsc_hexhex_hipILm64EEEvPdS2_mS2_
		.amdhsa_group_segment_fixed_size 128
		.amdhsa_private_segment_fixed_size 112
		.amdhsa_kernarg_size 32
		.amdhsa_user_sgpr_count 6
		.amdhsa_user_sgpr_private_segment_buffer 1
		.amdhsa_user_sgpr_dispatch_ptr 0
		.amdhsa_user_sgpr_queue_ptr 0
		.amdhsa_user_sgpr_kernarg_segment_ptr 1
		.amdhsa_user_sgpr_dispatch_id 0
		.amdhsa_user_sgpr_flat_scratch_init 0
		.amdhsa_user_sgpr_private_segment_size 0
		.amdhsa_wavefront_size32 1
		.amdhsa_uses_dynamic_stack 0
		.amdhsa_system_sgpr_private_segment_wavefront_offset 1
		.amdhsa_system_sgpr_workgroup_id_x 1
		.amdhsa_system_sgpr_workgroup_id_y 0
		.amdhsa_system_sgpr_workgroup_id_z 0
		.amdhsa_system_sgpr_workgroup_info 0
		.amdhsa_system_vgpr_workitem_id 0
		.amdhsa_next_free_vgpr 155
		.amdhsa_next_free_sgpr 55
		.amdhsa_reserve_vcc 1
		.amdhsa_reserve_flat_scratch 0
		.amdhsa_float_round_mode_32 0
		.amdhsa_float_round_mode_16_64 0
		.amdhsa_float_denorm_mode_32 3
		.amdhsa_float_denorm_mode_16_64 3
		.amdhsa_dx10_clamp 1
		.amdhsa_ieee_mode 1
		.amdhsa_fp16_overflow 0
		.amdhsa_workgroup_processor_mode 1
		.amdhsa_memory_ordered 1
		.amdhsa_forward_progress 1
		.amdhsa_shared_vgpr_count 0
		.amdhsa_exception_fp_ieee_invalid_op 0
		.amdhsa_exception_fp_denorm_src 0
		.amdhsa_exception_fp_ieee_div_zero 0
		.amdhsa_exception_fp_ieee_overflow 0
		.amdhsa_exception_fp_ieee_underflow 0
		.amdhsa_exception_fp_ieee_inexact 0
		.amdhsa_exception_int_div_zero 0
	.end_amdhsa_kernel
	.section	.text._ZN8rajaperf4apps16intsc_hexhex_hipILm64EEEvPdS2_mS2_,"axG",@progbits,_ZN8rajaperf4apps16intsc_hexhex_hipILm64EEEvPdS2_mS2_,comdat
.Lfunc_end0:
	.size	_ZN8rajaperf4apps16intsc_hexhex_hipILm64EEEvPdS2_mS2_, .Lfunc_end0-_ZN8rajaperf4apps16intsc_hexhex_hipILm64EEEvPdS2_mS2_
                                        ; -- End function
	.set _ZN8rajaperf4apps16intsc_hexhex_hipILm64EEEvPdS2_mS2_.num_vgpr, 155
	.set _ZN8rajaperf4apps16intsc_hexhex_hipILm64EEEvPdS2_mS2_.num_agpr, 0
	.set _ZN8rajaperf4apps16intsc_hexhex_hipILm64EEEvPdS2_mS2_.numbered_sgpr, 55
	.set _ZN8rajaperf4apps16intsc_hexhex_hipILm64EEEvPdS2_mS2_.num_named_barrier, 0
	.set _ZN8rajaperf4apps16intsc_hexhex_hipILm64EEEvPdS2_mS2_.private_seg_size, 112
	.set _ZN8rajaperf4apps16intsc_hexhex_hipILm64EEEvPdS2_mS2_.uses_vcc, 1
	.set _ZN8rajaperf4apps16intsc_hexhex_hipILm64EEEvPdS2_mS2_.uses_flat_scratch, 0
	.set _ZN8rajaperf4apps16intsc_hexhex_hipILm64EEEvPdS2_mS2_.has_dyn_sized_stack, 0
	.set _ZN8rajaperf4apps16intsc_hexhex_hipILm64EEEvPdS2_mS2_.has_recursion, 0
	.set _ZN8rajaperf4apps16intsc_hexhex_hipILm64EEEvPdS2_mS2_.has_indirect_call, 0
	.section	.AMDGPU.csdata,"",@progbits
; Kernel info:
; codeLenInByte = 35716
; TotalNumSgprs: 57
; NumVgprs: 155
; ScratchSize: 112
; MemoryBound: 0
; FloatMode: 240
; IeeeMode: 1
; LDSByteSize: 128 bytes/workgroup (compile time only)
; SGPRBlocks: 0
; VGPRBlocks: 19
; NumSGPRsForWavesPerEU: 57
; NumVGPRsForWavesPerEU: 155
; Occupancy: 6
; WaveLimiterHint : 0
; COMPUTE_PGM_RSRC2:SCRATCH_EN: 1
; COMPUTE_PGM_RSRC2:USER_SGPR: 6
; COMPUTE_PGM_RSRC2:TRAP_HANDLER: 0
; COMPUTE_PGM_RSRC2:TGID_X_EN: 1
; COMPUTE_PGM_RSRC2:TGID_Y_EN: 0
; COMPUTE_PGM_RSRC2:TGID_Z_EN: 0
; COMPUTE_PGM_RSRC2:TIDIG_COMP_CNT: 0
	.section	.text._ZN8rajaperf4apps32intsc_hexhex_hip_fixup_vv_64to72ILm64EEEvPdmS2_,"axG",@progbits,_ZN8rajaperf4apps32intsc_hexhex_hip_fixup_vv_64to72ILm64EEEvPdmS2_,comdat
	.protected	_ZN8rajaperf4apps32intsc_hexhex_hip_fixup_vv_64to72ILm64EEEvPdmS2_ ; -- Begin function _ZN8rajaperf4apps32intsc_hexhex_hip_fixup_vv_64to72ILm64EEEvPdmS2_
	.globl	_ZN8rajaperf4apps32intsc_hexhex_hip_fixup_vv_64to72ILm64EEEvPdmS2_
	.p2align	8
	.type	_ZN8rajaperf4apps32intsc_hexhex_hip_fixup_vv_64to72ILm64EEEvPdmS2_,@function
_ZN8rajaperf4apps32intsc_hexhex_hip_fixup_vv_64to72ILm64EEEvPdmS2_: ; @_ZN8rajaperf4apps32intsc_hexhex_hip_fixup_vv_64to72ILm64EEEvPdmS2_
; %bb.0:
	s_clause 0x1
	s_load_dwordx4 s[0:3], s[4:5], 0x0
	s_load_dwordx2 s[4:5], s[4:5], 0x10
	v_lshl_add_u32 v0, s6, 6, v0
	v_ashrrev_i32_e32 v1, 31, v0
	v_lshlrev_b64 v[6:7], 8, v[0:1]
	v_lshlrev_b64 v[4:5], 3, v[0:1]
	s_waitcnt lgkmcnt(0)
	v_mad_i64_i32 v[2:3], null, 0x240, v0, s[0:1]
	v_add_co_u32 v0, s0, s4, v6
	v_add_co_ci_u32_e64 v1, null, s5, v7, s0
	s_mov_b32 s0, exec_lo
	v_cmpx_gt_u64_e64 s[2:3], v[4:5]
	s_cbranch_execz .LBB1_2
; %bb.1:
	s_clause 0x1
	global_load_dwordx2 v[6:7], v[2:3], off
	global_load_dwordx2 v[8:9], v[2:3], off offset:64
	s_waitcnt vmcnt(0)
	v_add_f64 v[6:7], v[6:7], v[8:9]
	global_store_dwordx2 v[0:1], v[6:7], off
	s_clause 0x1
	global_load_dwordx2 v[6:7], v[2:3], off offset:8
	global_load_dwordx2 v[8:9], v[2:3], off offset:72
	s_waitcnt vmcnt(0)
	v_add_f64 v[6:7], v[6:7], v[8:9]
	global_store_dwordx2 v[0:1], v[6:7], off offset:8
	s_clause 0x1
	global_load_dwordx2 v[6:7], v[2:3], off offset:16
	global_load_dwordx2 v[8:9], v[2:3], off offset:80
	s_waitcnt vmcnt(0)
	v_add_f64 v[6:7], v[6:7], v[8:9]
	global_store_dwordx2 v[0:1], v[6:7], off offset:16
	;; [unrolled: 6-line block ×3, first 2 shown]
.LBB1_2:
	s_or_b32 exec_lo, exec_lo, s0
	v_or_b32_e32 v6, 1, v4
	v_mov_b32_e32 v7, v5
	s_mov_b32 s0, exec_lo
	v_cmpx_gt_u64_e64 s[2:3], v[6:7]
	s_cbranch_execz .LBB1_4
; %bb.3:
	s_clause 0x1
	global_load_dwordx2 v[6:7], v[2:3], off offset:96
	global_load_dwordx2 v[8:9], v[2:3], off offset:128
	s_waitcnt vmcnt(0)
	v_add_f64 v[6:7], v[6:7], v[8:9]
	global_store_dwordx2 v[0:1], v[6:7], off offset:32
	s_clause 0x1
	global_load_dwordx2 v[6:7], v[2:3], off offset:104
	global_load_dwordx2 v[8:9], v[2:3], off offset:136
	s_waitcnt vmcnt(0)
	v_add_f64 v[6:7], v[6:7], v[8:9]
	global_store_dwordx2 v[0:1], v[6:7], off offset:40
	s_clause 0x1
	global_load_dwordx2 v[6:7], v[2:3], off offset:112
	global_load_dwordx2 v[8:9], v[2:3], off offset:144
	s_waitcnt vmcnt(0)
	v_add_f64 v[6:7], v[6:7], v[8:9]
	global_store_dwordx2 v[0:1], v[6:7], off offset:48
	s_clause 0x1
	global_load_dwordx2 v[6:7], v[2:3], off offset:120
	global_load_dwordx2 v[8:9], v[2:3], off offset:152
	s_waitcnt vmcnt(0)
	v_add_f64 v[6:7], v[6:7], v[8:9]
	global_store_dwordx2 v[0:1], v[6:7], off offset:56
.LBB1_4:
	s_or_b32 exec_lo, exec_lo, s0
	v_or_b32_e32 v6, 2, v4
	v_mov_b32_e32 v7, v5
	s_mov_b32 s0, exec_lo
	v_cmpx_gt_u64_e64 s[2:3], v[6:7]
	s_cbranch_execz .LBB1_6
; %bb.5:
	s_clause 0x1
	global_load_dwordx2 v[6:7], v[2:3], off offset:160
	global_load_dwordx2 v[8:9], v[2:3], off offset:192
	s_waitcnt vmcnt(0)
	v_add_f64 v[6:7], v[6:7], v[8:9]
	global_store_dwordx2 v[0:1], v[6:7], off offset:64
	s_clause 0x1
	global_load_dwordx2 v[6:7], v[2:3], off offset:168
	global_load_dwordx2 v[8:9], v[2:3], off offset:200
	s_waitcnt vmcnt(0)
	v_add_f64 v[6:7], v[6:7], v[8:9]
	global_store_dwordx2 v[0:1], v[6:7], off offset:72
	s_clause 0x1
	global_load_dwordx2 v[6:7], v[2:3], off offset:176
	global_load_dwordx2 v[8:9], v[2:3], off offset:208
	s_waitcnt vmcnt(0)
	v_add_f64 v[6:7], v[6:7], v[8:9]
	global_store_dwordx2 v[0:1], v[6:7], off offset:80
	s_clause 0x1
	global_load_dwordx2 v[6:7], v[2:3], off offset:184
	global_load_dwordx2 v[8:9], v[2:3], off offset:216
	s_waitcnt vmcnt(0)
	v_add_f64 v[6:7], v[6:7], v[8:9]
	global_store_dwordx2 v[0:1], v[6:7], off offset:88
.LBB1_6:
	;; [unrolled: 32-line block ×6, first 2 shown]
	s_or_b32 exec_lo, exec_lo, s0
	v_or_b32_e32 v4, 7, v4
	s_mov_b32 s0, exec_lo
	v_cmpx_gt_u64_e64 s[2:3], v[4:5]
	s_cbranch_execz .LBB1_16
; %bb.15:
	s_clause 0x1
	global_load_dwordx2 v[4:5], v[2:3], off offset:480
	global_load_dwordx2 v[6:7], v[2:3], off offset:512
	s_waitcnt vmcnt(0)
	v_add_f64 v[4:5], v[4:5], v[6:7]
	global_store_dwordx2 v[0:1], v[4:5], off offset:224
	s_clause 0x1
	global_load_dwordx2 v[4:5], v[2:3], off offset:488
	global_load_dwordx2 v[6:7], v[2:3], off offset:520
	s_waitcnt vmcnt(0)
	v_add_f64 v[4:5], v[4:5], v[6:7]
	global_store_dwordx2 v[0:1], v[4:5], off offset:232
	;; [unrolled: 6-line block ×4, first 2 shown]
.LBB1_16:
	s_endpgm
	.section	.rodata,"a",@progbits
	.p2align	6, 0x0
	.amdhsa_kernel _ZN8rajaperf4apps32intsc_hexhex_hip_fixup_vv_64to72ILm64EEEvPdmS2_
		.amdhsa_group_segment_fixed_size 0
		.amdhsa_private_segment_fixed_size 0
		.amdhsa_kernarg_size 24
		.amdhsa_user_sgpr_count 6
		.amdhsa_user_sgpr_private_segment_buffer 1
		.amdhsa_user_sgpr_dispatch_ptr 0
		.amdhsa_user_sgpr_queue_ptr 0
		.amdhsa_user_sgpr_kernarg_segment_ptr 1
		.amdhsa_user_sgpr_dispatch_id 0
		.amdhsa_user_sgpr_flat_scratch_init 0
		.amdhsa_user_sgpr_private_segment_size 0
		.amdhsa_wavefront_size32 1
		.amdhsa_uses_dynamic_stack 0
		.amdhsa_system_sgpr_private_segment_wavefront_offset 0
		.amdhsa_system_sgpr_workgroup_id_x 1
		.amdhsa_system_sgpr_workgroup_id_y 0
		.amdhsa_system_sgpr_workgroup_id_z 0
		.amdhsa_system_sgpr_workgroup_info 0
		.amdhsa_system_vgpr_workitem_id 0
		.amdhsa_next_free_vgpr 10
		.amdhsa_next_free_sgpr 7
		.amdhsa_reserve_vcc 0
		.amdhsa_reserve_flat_scratch 0
		.amdhsa_float_round_mode_32 0
		.amdhsa_float_round_mode_16_64 0
		.amdhsa_float_denorm_mode_32 3
		.amdhsa_float_denorm_mode_16_64 3
		.amdhsa_dx10_clamp 1
		.amdhsa_ieee_mode 1
		.amdhsa_fp16_overflow 0
		.amdhsa_workgroup_processor_mode 1
		.amdhsa_memory_ordered 1
		.amdhsa_forward_progress 1
		.amdhsa_shared_vgpr_count 0
		.amdhsa_exception_fp_ieee_invalid_op 0
		.amdhsa_exception_fp_denorm_src 0
		.amdhsa_exception_fp_ieee_div_zero 0
		.amdhsa_exception_fp_ieee_overflow 0
		.amdhsa_exception_fp_ieee_underflow 0
		.amdhsa_exception_fp_ieee_inexact 0
		.amdhsa_exception_int_div_zero 0
	.end_amdhsa_kernel
	.section	.text._ZN8rajaperf4apps32intsc_hexhex_hip_fixup_vv_64to72ILm64EEEvPdmS2_,"axG",@progbits,_ZN8rajaperf4apps32intsc_hexhex_hip_fixup_vv_64to72ILm64EEEvPdmS2_,comdat
.Lfunc_end1:
	.size	_ZN8rajaperf4apps32intsc_hexhex_hip_fixup_vv_64to72ILm64EEEvPdmS2_, .Lfunc_end1-_ZN8rajaperf4apps32intsc_hexhex_hip_fixup_vv_64to72ILm64EEEvPdmS2_
                                        ; -- End function
	.set _ZN8rajaperf4apps32intsc_hexhex_hip_fixup_vv_64to72ILm64EEEvPdmS2_.num_vgpr, 10
	.set _ZN8rajaperf4apps32intsc_hexhex_hip_fixup_vv_64to72ILm64EEEvPdmS2_.num_agpr, 0
	.set _ZN8rajaperf4apps32intsc_hexhex_hip_fixup_vv_64to72ILm64EEEvPdmS2_.numbered_sgpr, 7
	.set _ZN8rajaperf4apps32intsc_hexhex_hip_fixup_vv_64to72ILm64EEEvPdmS2_.num_named_barrier, 0
	.set _ZN8rajaperf4apps32intsc_hexhex_hip_fixup_vv_64to72ILm64EEEvPdmS2_.private_seg_size, 0
	.set _ZN8rajaperf4apps32intsc_hexhex_hip_fixup_vv_64to72ILm64EEEvPdmS2_.uses_vcc, 0
	.set _ZN8rajaperf4apps32intsc_hexhex_hip_fixup_vv_64to72ILm64EEEvPdmS2_.uses_flat_scratch, 0
	.set _ZN8rajaperf4apps32intsc_hexhex_hip_fixup_vv_64to72ILm64EEEvPdmS2_.has_dyn_sized_stack, 0
	.set _ZN8rajaperf4apps32intsc_hexhex_hip_fixup_vv_64to72ILm64EEEvPdmS2_.has_recursion, 0
	.set _ZN8rajaperf4apps32intsc_hexhex_hip_fixup_vv_64to72ILm64EEEvPdmS2_.has_indirect_call, 0
	.section	.AMDGPU.csdata,"",@progbits
; Kernel info:
; codeLenInByte = 1572
; TotalNumSgprs: 7
; NumVgprs: 10
; ScratchSize: 0
; MemoryBound: 1
; FloatMode: 240
; IeeeMode: 1
; LDSByteSize: 0 bytes/workgroup (compile time only)
; SGPRBlocks: 0
; VGPRBlocks: 1
; NumSGPRsForWavesPerEU: 7
; NumVGPRsForWavesPerEU: 10
; Occupancy: 16
; WaveLimiterHint : 1
; COMPUTE_PGM_RSRC2:SCRATCH_EN: 0
; COMPUTE_PGM_RSRC2:USER_SGPR: 6
; COMPUTE_PGM_RSRC2:TRAP_HANDLER: 0
; COMPUTE_PGM_RSRC2:TGID_X_EN: 1
; COMPUTE_PGM_RSRC2:TGID_Y_EN: 0
; COMPUTE_PGM_RSRC2:TGID_Z_EN: 0
; COMPUTE_PGM_RSRC2:TIDIG_COMP_CNT: 0
	.section	.text._ZN8rajaperf17lambda_hip_forallILm64EZNS_4apps12INTSC_HEXHEX17runHipVariantImplILm64EEEvNS_9VariantIDEEUllE_EEvllT0_,"axG",@progbits,_ZN8rajaperf17lambda_hip_forallILm64EZNS_4apps12INTSC_HEXHEX17runHipVariantImplILm64EEEvNS_9VariantIDEEUllE_EEvllT0_,comdat
	.protected	_ZN8rajaperf17lambda_hip_forallILm64EZNS_4apps12INTSC_HEXHEX17runHipVariantImplILm64EEEvNS_9VariantIDEEUllE_EEvllT0_ ; -- Begin function _ZN8rajaperf17lambda_hip_forallILm64EZNS_4apps12INTSC_HEXHEX17runHipVariantImplILm64EEEvNS_9VariantIDEEUllE_EEvllT0_
	.globl	_ZN8rajaperf17lambda_hip_forallILm64EZNS_4apps12INTSC_HEXHEX17runHipVariantImplILm64EEEvNS_9VariantIDEEUllE_EEvllT0_
	.p2align	8
	.type	_ZN8rajaperf17lambda_hip_forallILm64EZNS_4apps12INTSC_HEXHEX17runHipVariantImplILm64EEEvNS_9VariantIDEEUllE_EEvllT0_,@function
_ZN8rajaperf17lambda_hip_forallILm64EZNS_4apps12INTSC_HEXHEX17runHipVariantImplILm64EEEvNS_9VariantIDEEUllE_EEvllT0_: ; @_ZN8rajaperf17lambda_hip_forallILm64EZNS_4apps12INTSC_HEXHEX17runHipVariantImplILm64EEEvNS_9VariantIDEEUllE_EEvllT0_
; %bb.0:
	s_load_dwordx4 s[8:11], s[4:5], 0x0
	s_add_u32 s0, s0, s7
	s_mov_b32 s7, 0
	s_addc_u32 s1, s1, 0
	s_lshl_b64 s[6:7], s[6:7], 6
	v_mov_b32_e32 v1, 0
	s_waitcnt lgkmcnt(0)
	s_add_u32 s6, s8, s6
	s_addc_u32 s7, s9, s7
	v_add_co_u32 v57, s6, s6, v0
	v_add_co_ci_u32_e64 v56, null, s7, 0, s6
	s_mov_b32 s6, exec_lo
	v_mov_b32_e32 v58, v56
	v_cmpx_gt_i64_e64 s[10:11], v[57:58]
	s_cbranch_execz .LBB2_134
; %bb.1:
	v_mul_hi_u32 v0, 0x38e38e39, v57
	s_load_dwordx4 s[48:51], s[4:5], 0x10
	v_mov_b32_e32 v18, 0
	v_mov_b32_e32 v20, 0
	;; [unrolled: 1-line block ×6, first 2 shown]
	v_mad_u64_u32 v[2:3], null, 0x38e38e39, v56, v[0:1]
	v_mov_b32_e32 v17, 0
	v_mov_b32_e32 v23, 0
	v_mov_b32_e32 v0, v2
	v_mad_u64_u32 v[0:1], null, 0xe38e38e, v57, v[0:1]
	v_add_co_u32 v0, s6, v3, v1
	v_add_co_ci_u32_e64 v1, null, 0, 0, s6
	v_mad_u64_u32 v[1:2], null, 0xe38e38e, v56, v[0:1]
	v_ashrrev_i32_e32 v0, 31, v56
	v_mul_lo_u32 v3, 0xe38e38e, v0
	v_mul_lo_u32 v4, 0x38e38e39, v0
	v_mad_u64_u32 v[1:2], null, 0x38e38e39, v0, v[1:2]
	v_add3_u32 v2, v4, v2, v3
	v_ashrrev_i64 v[3:4], 2, v[1:2]
	v_lshrrev_b32_e32 v1, 31, v2
	v_add_co_u32 v58, vcc_lo, v3, v1
	v_add_co_ci_u32_e64 v59, null, 0, v4, vcc_lo
	s_waitcnt lgkmcnt(0)
	v_cmp_gt_u64_e32 vcc_lo, s[50:51], v[58:59]
	s_and_saveexec_b32 s50, vcc_lo
	s_cbranch_execz .LBB2_126
; %bb.2:
	v_mul_hi_u32 v1, 0xaaaaaaab, v57
	v_mov_b32_e32 v2, 0
	v_mad_u64_u32 v[3:4], null, 0xaaaaaaab, v56, v[1:2]
	v_mov_b32_e32 v1, v3
	v_mad_u64_u32 v[5:6], null, 0x2aaaaaaa, v57, v[1:2]
	v_mul_lo_u32 v5, 0x2aaaaaaa, v0
	v_add_co_u32 v3, s6, v4, v6
	v_add_co_ci_u32_e64 v4, null, 0, 0, s6
	v_mul_lo_u32 v6, 0xaaaaaaab, v0
	v_mad_u64_u32 v[3:4], null, 0x2aaaaaaa, v56, v[3:4]
	v_mad_u64_u32 v[0:1], null, 0xaaaaaaab, v0, v[3:4]
	v_add3_u32 v1, v6, v1, v5
	v_lshrrev_b32_e32 v3, 31, v1
	v_add_co_u32 v9, vcc_lo, v0, v3
	v_add_co_ci_u32_e64 v8, null, 0, v1, vcc_lo
	v_mul_hi_u32 v1, 0xaaaaaaab, v9
	v_mad_u64_u32 v[3:4], null, 0xaaaaaaab, v8, v[1:2]
	v_mov_b32_e32 v1, v3
	v_mad_u64_u32 v[0:1], null, 0x2aaaaaaa, v9, v[1:2]
	v_ashrrev_i32_e32 v2, 31, v8
	v_mul_lo_u32 v3, 0x2aaaaaaa, v2
	v_add_co_u32 v0, s6, v4, v1
	v_add_co_ci_u32_e64 v1, null, 0, 0, s6
	v_mul_lo_u32 v4, 0xaaaaaaab, v2
	s_mov_b32 s6, exec_lo
	v_mad_u64_u32 v[0:1], null, 0x2aaaaaaa, v8, v[0:1]
	v_mad_u64_u32 v[0:1], null, 0xaaaaaaab, v2, v[0:1]
	v_add3_u32 v1, v4, v1, v3
	v_ashrrev_i64 v[2:3], 1, v[0:1]
	v_lshrrev_b32_e32 v0, 31, v1
	v_add_co_u32 v0, vcc_lo, v2, v0
	v_add_co_ci_u32_e64 v2, null, 0, v3, vcc_lo
	v_mad_u64_u32 v[0:1], null, v0, 12, 0
	v_mad_u64_u32 v[1:2], null, v2, 12, v[1:2]
	v_sub_co_u32 v2, vcc_lo, v9, v0
	v_sub_co_ci_u32_e64 v3, null, v8, v1, vcc_lo
                                        ; implicit-def: $vgpr0_vgpr1
	v_lshlrev_b64 v[6:7], 2, v[2:3]
	v_cmpx_lt_i64_e32 5, v[2:3]
	s_xor_b32 s6, exec_lo, s6
; %bb.3:
	v_sub_co_u32 v2, vcc_lo, 12, v2
	s_getpc_b64 s[8:9]
	s_add_u32 s8, s8, __const._ZN8rajaperf14hex_intsc_subzEPKdS1_iiRdS2_S2_S2_.cyc_nod@rel32@lo+48
	s_addc_u32 s9, s9, __const._ZN8rajaperf14hex_intsc_subzEPKdS1_iiRdS2_S2_S2_.cyc_nod@rel32@hi+56
	v_sub_co_ci_u32_e64 v3, null, 0, v3, vcc_lo
	v_sub_co_u32 v0, vcc_lo, s8, v6
	v_sub_co_ci_u32_e64 v1, null, s9, v7, vcc_lo
                                        ; implicit-def: $vgpr6_vgpr7
; %bb.4:
	s_or_saveexec_b32 s8, s6
	s_load_dwordx4 s[4:7], s[4:5], 0x20
	v_mov_b32_e32 v4, 7
	v_mov_b32_e32 v5, 0
	s_xor_b32 exec_lo, exec_lo, s8
; %bb.5:
	s_getpc_b64 s[10:11]
	s_add_u32 s10, s10, __const._ZN8rajaperf14hex_intsc_subzEPKdS1_iiRdS2_S2_S2_.cyc_nod@rel32@lo+8
	s_addc_u32 s11, s11, __const._ZN8rajaperf14hex_intsc_subzEPKdS1_iiRdS2_S2_S2_.cyc_nod@rel32@hi+16
	v_add_co_u32 v0, vcc_lo, s10, v6
	v_add_co_ci_u32_e64 v1, null, s11, v7, vcc_lo
	v_mov_b32_e32 v4, 0
	v_mov_b32_e32 v5, 0
; %bb.6:
	s_or_b32 exec_lo, exec_lo, s8
	v_mad_u64_u32 v[5:6], null, v9, 6, 0
	s_getpc_b64 s[8:9]
	s_add_u32 s8, s8, __const._ZN8rajaperf14hex_intsc_subzEPKdS1_iiRdS2_S2_S2_.vert_cyc@rel32@lo+4
	s_addc_u32 s9, s9, __const._ZN8rajaperf14hex_intsc_subzEPKdS1_iiRdS2_S2_S2_.vert_cyc@rel32@hi+12
	v_mul_lo_u32 v21, 0xc0, v59
	v_lshlrev_b64 v[2:3], 2, v[2:3]
	s_waitcnt lgkmcnt(0)
	v_mad_u64_u32 v[19:20], null, 0xc0, v58, s[4:5]
	s_mov_b32 s4, 0xe48e0530
	v_sub_co_u32 v5, vcc_lo, v57, v5
	v_mad_u64_u32 v[6:7], null, v8, 6, v[6:7]
	s_mov_b32 s5, 0x2b2bff2e
	v_add_nc_u16 v7, v5, 1
	v_mov_b32_e32 v136, -1
	v_mov_b32_e32 v139, -1
	;; [unrolled: 1-line block ×4, first 2 shown]
	v_bfe_i32 v8, v7, 0, 8
	v_sub_co_ci_u32_e64 v6, null, v56, v6, vcc_lo
	v_mov_b32_e32 v86, 6
	v_mov_b32_e32 v87, 7
	v_mul_lo_u16 v8, v8, 43
	v_lshlrev_b64 v[5:6], 2, v[5:6]
	v_mov_b32_e32 v88, 8
	v_mov_b32_e32 v89, 3
                                        ; implicit-def: $sgpr12
	v_lshrrev_b16 v9, 15, v8
	v_lshrrev_b16 v8, 8, v8
	v_add_co_u32 v5, vcc_lo, s8, v5
	v_add_co_ci_u32_e64 v6, null, s9, v6, vcc_lo
	v_add_nc_u16 v8, v8, v9
	v_mad_u64_u32 v[9:10], null, 0xc0, v58, s[6:7]
	global_load_dword v5, v[5:6], off
	v_mul_lo_u16 v8, v8, 6
	v_add_nc_u32_e32 v10, v21, v10
	v_sub_nc_u16 v7, v7, v8
	v_bfe_i32 v6, v7, 0, 8
	v_ashrrev_i32_e32 v7, 31, v6
	v_lshlrev_b64 v[6:7], 2, v[6:7]
	v_add_co_u32 v6, vcc_lo, s8, v6
	v_add_co_ci_u32_e64 v7, null, s9, v7, vcc_lo
	s_getpc_b64 s[8:9]
	s_add_u32 s8, s8, __const._ZN8rajaperf14hex_intsc_subzEPKdS1_iiRdS2_S2_S2_.cyc_nod@rel32@lo+4
	s_addc_u32 s9, s9, __const._ZN8rajaperf14hex_intsc_subzEPKdS1_iiRdS2_S2_S2_.cyc_nod@rel32@hi+12
	v_add_co_u32 v2, vcc_lo, s8, v2
	global_load_dword v7, v[6:7], off
	v_add_co_ci_u32_e64 v3, null, s9, v3, vcc_lo
	s_mov_b32 s8, 0
	global_load_dword v2, v[2:3], off
	s_waitcnt vmcnt(2)
	v_ashrrev_i32_e32 v6, 31, v5
	v_lshlrev_b64 v[5:6], 3, v[5:6]
	v_add_co_u32 v5, vcc_lo, v9, v5
	v_add_co_ci_u32_e64 v6, null, v10, v6, vcc_lo
	s_clause 0x3
	global_load_dwordx2 v[60:61], v[9:10], off
	global_load_dwordx4 v[48:51], v[9:10], off offset:56
	global_load_dwordx4 v[52:55], v[9:10], off offset:120
	global_load_dwordx2 v[11:12], v[5:6], off
	global_load_dword v0, v[0:1], off
	v_lshlrev_b32_e32 v1, 3, v4
	v_add_nc_u32_e32 v4, v21, v20
	s_waitcnt vmcnt(6)
	v_ashrrev_i32_e32 v8, 31, v7
	v_lshlrev_b64 v[7:8], 3, v[7:8]
	s_waitcnt vmcnt(5)
	v_ashrrev_i32_e32 v3, 31, v2
	v_lshlrev_b64 v[2:3], 3, v[2:3]
	v_add_co_u32 v7, vcc_lo, v9, v7
	v_add_co_ci_u32_e64 v8, null, v10, v8, vcc_lo
	v_add_co_u32 v20, vcc_lo, v19, v1
	s_clause 0x5
	global_load_dwordx2 v[13:14], v[7:8], off offset:64
	global_load_dwordx2 v[15:16], v[7:8], off offset:128
	;; [unrolled: 1-line block ×3, first 2 shown]
	global_load_dwordx2 v[7:8], v[7:8], off
	global_load_dwordx2 v[17:18], v[5:6], off offset:64
	global_load_dwordx2 v[5:6], v[5:6], off offset:128
	v_add_co_ci_u32_e64 v21, null, 0, v4, vcc_lo
	v_add_co_u32 v2, vcc_lo, v19, v2
	v_add_co_ci_u32_e64 v3, null, v4, v3, vcc_lo
	s_waitcnt vmcnt(9)
	v_add_f64 v[72:73], v[48:49], -v[60:61]
	s_waitcnt vmcnt(8)
	v_add_f64 v[52:53], v[52:53], -v[50:51]
	;; [unrolled: 2-line block ×3, first 2 shown]
	s_waitcnt vmcnt(6)
	v_ashrrev_i32_e32 v1, 31, v0
	global_load_dwordx2 v[11:12], v[20:21], off offset:64
	v_lshlrev_b64 v[0:1], 3, v[0:1]
	v_add_co_u32 v22, vcc_lo, v19, v0
	v_add_co_ci_u32_e64 v23, null, v4, v1, vcc_lo
	s_clause 0x1
	global_load_dwordx2 v[24:25], v[2:3], off offset:64
	global_load_dwordx2 v[26:27], v[22:23], off offset:64
	v_mul_f64 v[28:29], v[62:63], v[52:53]
	s_waitcnt vmcnt(8)
	v_add_f64 v[64:65], v[13:14], -v[50:51]
	s_waitcnt vmcnt(7)
	v_add_f64 v[66:67], v[15:16], -v[54:55]
	s_clause 0x3
	global_load_dwordx2 v[30:31], v[20:21], off offset:128
	global_load_dwordx2 v[13:14], v[20:21], off
	global_load_dwordx2 v[32:33], v[2:3], off
	;; [unrolled: 1-line block ×3, first 2 shown]
	s_waitcnt vmcnt(10)
	v_add_f64 v[68:69], v[9:10], -v[54:55]
	s_waitcnt vmcnt(9)
	v_add_f64 v[70:71], v[7:8], -v[60:61]
	s_clause 0x1
	global_load_dwordx2 v[2:3], v[2:3], off offset:128
	global_load_dwordx2 v[36:37], v[22:23], off offset:128
	s_waitcnt vmcnt(10)
	v_add_f64 v[78:79], v[17:18], -v[50:51]
	s_waitcnt vmcnt(9)
	v_add_f64 v[76:77], v[5:6], -v[54:55]
	v_mul_f64 v[0:1], v[62:63], v[64:65]
	v_mul_f64 v[7:8], v[66:67], v[28:29]
	;; [unrolled: 1-line block ×6, first 2 shown]
	v_fma_f64 v[28:29], v[78:79], v[72:73], -v[28:29]
	v_fma_f64 v[6:7], v[0:1], v[68:69], -v[7:8]
	;; [unrolled: 1-line block ×3, first 2 shown]
	v_fma_f64 v[6:7], v[76:77], v[9:10], v[6:7]
	v_mul_f64 v[8:9], v[78:79], v[72:73]
	v_fma_f64 v[6:7], -v[4:5], v[68:69], v[6:7]
	v_fma_f64 v[6:7], v[66:67], v[8:9], v[6:7]
	v_fma_f64 v[74:75], -v[76:77], v[38:39], v[6:7]
	v_fma_f64 v[40:41], v[74:75], v[74:75], s[4:5]
	v_div_scale_f64 v[6:7], null, v[40:41], v[40:41], v[74:75]
	v_div_scale_f64 v[42:43], vcc_lo, v[74:75], v[40:41], v[74:75]
	v_rcp_f64_e32 v[8:9], v[6:7]
	v_fma_f64 v[15:16], -v[6:7], v[8:9], 1.0
	v_fma_f64 v[8:9], v[8:9], v[15:16], v[8:9]
	v_fma_f64 v[15:16], -v[6:7], v[8:9], 1.0
	v_fma_f64 v[44:45], v[8:9], v[15:16], v[8:9]
	s_waitcnt vmcnt(8)
	v_add_f64 v[16:17], v[11:12], -v[50:51]
	v_mul_f64 v[8:9], v[76:77], v[72:73]
	v_mul_f64 v[10:11], v[66:67], v[52:53]
	s_waitcnt vmcnt(7)
	v_add_f64 v[22:23], v[24:25], -v[50:51]
	s_waitcnt vmcnt(6)
	v_add_f64 v[20:21], v[26:27], -v[50:51]
	v_mul_f64 v[24:25], v[78:79], v[68:69]
	v_mul_f64 v[48:49], v[42:43], v[44:45]
	v_fma_f64 v[26:27], v[62:63], v[68:69], -v[8:9]
	v_fma_f64 v[80:81], v[64:65], v[68:69], -v[10:11]
	v_mul_f64 v[10:11], v[16:17], v[46:47]
	s_waitcnt vmcnt(4)
	v_add_f64 v[12:13], v[13:14], -v[60:61]
	s_waitcnt vmcnt(3)
	v_add_f64 v[14:15], v[32:33], -v[60:61]
	;; [unrolled: 2-line block ×3, first 2 shown]
	v_mul_f64 v[32:33], v[22:23], v[46:47]
	v_mul_f64 v[34:35], v[20:21], v[46:47]
	s_waitcnt vmcnt(1)
	v_add_f64 v[8:9], v[2:3], -v[54:55]
	v_fma_f64 v[24:25], v[76:77], v[52:53], -v[24:25]
	v_mov_b32_e32 v46, 1
	v_mov_b32_e32 v47, 2
	v_fma_f64 v[42:43], -v[6:7], v[48:49], v[42:43]
	v_add_f64 v[6:7], v[30:31], -v[54:55]
	v_fma_f64 v[30:31], v[70:71], v[52:53], -v[38:39]
	v_mul_f64 v[2:3], v[16:17], v[26:27]
	v_fma_f64 v[38:39], v[12:13], v[80:81], v[10:11]
	s_waitcnt vmcnt(0)
	v_add_f64 v[10:11], v[36:37], -v[54:55]
	v_fma_f64 v[32:33], v[14:15], v[80:81], v[32:33]
	v_fma_f64 v[34:35], v[18:19], v[80:81], v[34:35]
	v_div_fmas_f64 v[42:43], v[42:43], v[44:45], v[48:49]
	v_mul_f64 v[44:45], v[22:23], v[26:27]
	v_mul_f64 v[26:27], v[20:21], v[26:27]
	v_fma_f64 v[36:37], v[12:13], v[24:25], v[2:3]
	v_mov_b32_e32 v48, 4
	v_mov_b32_e32 v49, 5
	v_fma_f64 v[38:39], v[6:7], v[30:31], v[38:39]
	v_div_fixup_f64 v[2:3], v[42:43], v[40:41], v[74:75]
	v_fma_f64 v[40:41], v[14:15], v[24:25], v[44:45]
	v_fma_f64 v[24:25], v[18:19], v[24:25], v[26:27]
	;; [unrolled: 1-line block ×5, first 2 shown]
	v_fma_f64 v[34:35], -v[38:39], v[2:3], 1.0
	v_fma_f64 v[40:41], v[8:9], v[28:29], v[40:41]
	v_fma_f64 v[28:29], v[10:11], v[28:29], v[24:25]
	v_fma_f64 v[24:25], -v[42:43], v[2:3], 1.0
	v_fma_f64 v[44:45], -v[30:31], v[2:3], 1.0
	v_mul_f64 v[32:33], v[26:27], v[2:3]
	v_mul_f64 v[84:85], v[38:39], v[2:3]
	;; [unrolled: 1-line block ×4, first 2 shown]
	v_mov_b32_e32 v30, 0
	v_fma_f64 v[110:111], -v[26:27], v[2:3], v[34:35]
	v_mul_f64 v[34:35], v[40:41], v[2:3]
	v_mul_f64 v[36:37], v[28:29], v[2:3]
	v_fma_f64 v[24:25], -v[40:41], v[2:3], v[24:25]
	v_fma_f64 v[26:27], -v[28:29], v[2:3], v[44:45]
	buffer_store_dword v46, off, s[0:3], 0 offset:40
	buffer_store_dword v47, off, s[0:3], 0 offset:44
	;; [unrolled: 1-line block ×11, first 2 shown]
	buffer_store_dword v110, off, s[0:3], 0
	buffer_store_dword v25, off, s[0:3], 0 offset:12
	buffer_store_dword v24, off, s[0:3], 0 offset:8
	;; [unrolled: 1-line block ×4, first 2 shown]
	v_mov_b32_e32 v28, v110
	v_mov_b32_e32 v29, v111
	s_inst_prefetch 0x1
	.p2align	6
.LBB2_7:                                ; =>This Inner Loop Header: Depth=1
	v_lshl_add_u32 v31, v30, 2, 0
	v_cmp_le_f64_e32 vcc_lo, 0, v[28:29]
	v_cmp_gt_f64_e64 s5, 0, v[28:29]
	v_mov_b32_e32 v137, v138
	buffer_load_dword v31, v31, s[0:3], 0 offen offset:40
	s_waitcnt vmcnt(0)
	v_max_i32_e32 v40, 0, v31
	v_cmp_gt_i32_e64 s7, 0, v31
	v_lshl_add_u32 v39, v40, 3, 0
	s_clause 0x1
	buffer_load_dword v38, v39, s[0:3], 0 offen
	buffer_load_dword v39, v39, s[0:3], 0 offen offset:4
	s_waitcnt vmcnt(0)
	v_cmp_gt_f64_e64 s4, 0, v[38:39]
	v_cmp_le_f64_e64 s6, 0, v[38:39]
	v_mov_b32_e32 v28, v38
	v_mov_b32_e32 v29, v39
	s_and_b32 vcc_lo, vcc_lo, s4
	s_and_b32 s4, s5, s6
	v_cndmask_b32_e32 v141, v141, v40, vcc_lo
	v_cndmask_b32_e64 v138, v137, v40, s4
	s_or_b32 s8, s7, s8
	v_cndmask_b32_e32 v136, v136, v30, vcc_lo
	v_cndmask_b32_e64 v139, v139, v30, s4
	v_mov_b32_e32 v30, v31
	s_andn2_b32 s4, s12, exec_lo
	s_and_b32 s5, s5, exec_lo
	s_or_b32 s12, s4, s5
	s_andn2_b32 exec_lo, exec_lo, s8
	s_cbranch_execnz .LBB2_7
; %bb.8:
	s_inst_prefetch 0x2
	s_or_b32 exec_lo, exec_lo, s8
	v_mul_f64 v[28:29], v[62:63], v[66:67]
	v_mul_f64 v[30:31], v[76:77], v[64:65]
	v_add_f64 v[0:1], v[0:1], -v[4:5]
	v_mov_b32_e32 v38, 0
	v_cmp_lt_i32_e64 s4, -1, v136
	v_mov_b32_e32 v140, -1
	v_mov_b32_e32 v142, -1
	v_mov_b32_e32 v39, v38
	v_mov_b32_e32 v40, v38
	;; [unrolled: 1-line block ×14, first 2 shown]
	v_fma_f64 v[28:29], v[76:77], v[70:71], -v[28:29]
	v_fma_f64 v[30:31], v[78:79], v[66:67], -v[30:31]
	v_mov_b32_e32 v105, v38
	v_mov_b32_e32 v120, v38
	;; [unrolled: 1-line block ×20, first 2 shown]
	v_mul_f64 v[16:17], v[16:17], v[28:29]
	v_mul_f64 v[22:23], v[22:23], v[28:29]
	;; [unrolled: 1-line block ×3, first 2 shown]
	v_mov_b32_e32 v130, v38
	v_mov_b32_e32 v92, v38
	v_mov_b32_e32 v93, v38
	v_mov_b32_e32 v94, v38
	v_mov_b32_e32 v95, v38
	v_mov_b32_e32 v127, v38
	v_mov_b32_e32 v115, v38
	v_mov_b32_e32 v126, v38
	v_mov_b32_e32 v114, v38
	v_mov_b32_e32 v125, v38
	v_mov_b32_e32 v113, v38
	v_mov_b32_e32 v124, v38
	v_mov_b32_e32 v112, v38
	v_fma_f64 v[4:5], v[12:13], v[30:31], v[16:17]
	v_fma_f64 v[12:13], v[14:15], v[30:31], v[22:23]
	;; [unrolled: 1-line block ×6, first 2 shown]
	v_mul_f64 v[90:91], v[4:5], v[2:3]
	v_mul_f64 v[88:89], v[6:7], v[2:3]
	v_mul_f64 v[86:87], v[0:1], v[2:3]
	v_fma_f64 v[98:99], -v[4:5], v[2:3], v[110:111]
	v_fma_f64 v[100:101], -v[6:7], v[2:3], v[24:25]
	;; [unrolled: 1-line block ×3, first 2 shown]
	v_mov_b32_e32 v0, v32
	v_mov_b32_e32 v18, v50
	;; [unrolled: 1-line block ×19, first 2 shown]
	v_mov_b32_e32 v18, -1
	v_mov_b32_e32 v19, v51
	v_mov_b32_e32 v20, v52
	;; [unrolled: 1-line block ×13, first 2 shown]
	s_and_saveexec_b32 s13, s4
	s_cbranch_execz .LBB2_10
; %bb.9:
	v_lshl_add_u32 v1, v141, 3, 0
	v_lshl_add_u32 v3, v136, 3, 0
	;; [unrolled: 1-line block ×4, first 2 shown]
	v_cmp_eq_u32_e64 s5, 1, v136
	s_clause 0x7
	buffer_load_dword v0, v1, s[0:3], 0 offen
	buffer_load_dword v1, v1, s[0:3], 0 offen offset:4
	buffer_load_dword v2, v3, s[0:3], 0 offen
	buffer_load_dword v3, v3, s[0:3], 0 offen offset:4
	;; [unrolled: 2-line block ×4, first 2 shown]
	v_cmp_eq_u32_e64 s6, 1, v141
	v_cndmask_b32_e64 v28, v85, v83, s5
	v_cmp_eq_u32_e64 s8, 2, v136
	v_cmp_eq_u32_e64 s9, 2, v141
	v_cmp_eq_u32_e32 vcc_lo, 1, v138
	v_cndmask_b32_e64 v30, v85, v83, s6
	v_cmp_eq_u32_e64 s7, 1, v139
	v_cndmask_b32_e64 v43, v28, v81, s8
	v_cndmask_b32_e64 v44, v84, v82, s5
	v_cndmask_b32_e32 v39, v85, v83, vcc_lo
	v_cndmask_b32_e64 v45, v30, v81, s9
	v_cndmask_b32_e64 v40, v85, v83, s7
	;; [unrolled: 1-line block ×15, first 2 shown]
	v_cmp_eq_u32_e64 s5, 2, v138
	v_cmp_eq_u32_e64 s6, 2, v139
	v_cndmask_b32_e32 v107, v84, v82, vcc_lo
	v_cndmask_b32_e64 v116, v84, v82, s7
	v_cndmask_b32_e32 v117, v33, v35, vcc_lo
	v_cndmask_b32_e64 v108, v39, v81, s5
	v_cndmask_b32_e64 v109, v40, v81, s6
	v_cndmask_b32_e32 v118, v32, v34, vcc_lo
	v_cndmask_b32_e32 v119, v91, v89, vcc_lo
	;; [unrolled: 1-line block ×3, first 2 shown]
	v_cndmask_b32_e64 v121, v91, v89, s7
	v_cndmask_b32_e64 v122, v90, v88, s7
	v_cndmask_b32_e32 v123, v99, v101, vcc_lo
	v_cndmask_b32_e32 v128, v98, v100, vcc_lo
	v_cndmask_b32_e64 v129, v99, v101, s7
	v_cndmask_b32_e64 v130, v98, v100, s7
	v_cmp_eq_u32_e32 vcc_lo, 3, v136
	v_mov_b32_e32 v142, 3
	v_mov_b32_e32 v18, 4
	v_mov_b32_e32 v19, 5
	v_mov_b32_e32 v127, v38
	v_mov_b32_e32 v115, v38
	v_mov_b32_e32 v126, v38
	v_mov_b32_e32 v114, v38
	v_mov_b32_e32 v125, v38
	v_mov_b32_e32 v113, v38
	v_mov_b32_e32 v124, v38
	v_mov_b32_e32 v112, v38
	v_mov_b32_e32 v10, v38
	v_mov_b32_e32 v11, v38
	v_mov_b32_e32 v12, v38
	v_mov_b32_e32 v13, v38
	v_mov_b32_e32 v14, v38
	v_mov_b32_e32 v15, v38
	v_mov_b32_e32 v135, v38
	v_mov_b32_e32 v134, v38
	v_mov_b32_e32 v132, v38
	v_mov_b32_e32 v131, v38
	v_mov_b32_e32 v133, v38
	buffer_store_dword v19, off, s[0:3], 0 offset:84
	s_waitcnt vmcnt(6)
	v_add_f64 v[8:9], -v[0:1], 0
	s_waitcnt vmcnt(2)
	v_add_f64 v[22:23], -v[4:5], 0
	v_add_f64 v[16:17], v[2:3], -v[0:1]
	s_waitcnt vmcnt(0)
	v_add_f64 v[6:7], v[6:7], -v[4:5]
	v_mov_b32_e32 v4, v36
	v_mov_b32_e32 v5, v37
	v_div_scale_f64 v[20:21], null, v[16:17], v[16:17], v[8:9]
	v_div_scale_f64 v[24:25], null, v[6:7], v[6:7], v[22:23]
	v_div_scale_f64 v[41:42], s10, v[8:9], v[16:17], v[8:9]
	v_rcp_f64_e32 v[0:1], v[20:21]
	v_rcp_f64_e32 v[28:29], v[24:25]
	v_fma_f64 v[2:3], -v[20:21], v[0:1], 1.0
	v_fma_f64 v[39:40], -v[24:25], v[28:29], 1.0
	v_fma_f64 v[26:27], v[0:1], v[2:3], v[0:1]
	v_mov_b32_e32 v0, v32
	v_fma_f64 v[28:29], v[28:29], v[39:40], v[28:29]
	v_mov_b32_e32 v1, v33
	v_cndmask_b32_e64 v33, v33, v35, s7
	v_cndmask_b32_e64 v32, v32, v34, s7
	v_cmp_eq_u32_e64 s7, 3, v141
	v_mov_b32_e32 v2, v34
	v_mov_b32_e32 v3, v35
	v_cndmask_b32_e64 v34, v43, 0, vcc_lo
	v_cndmask_b32_e64 v35, v44, v80, s8
	v_cndmask_b32_e64 v43, v45, 0, s7
	;; [unrolled: 1-line block ×12, first 2 shown]
	v_fma_f64 v[30:31], -v[20:21], v[26:27], 1.0
	v_cndmask_b32_e64 v37, v33, v37, s6
	v_cndmask_b32_e64 v36, v32, v36, s6
	v_fma_f64 v[32:33], -v[24:25], v[28:29], 1.0
	v_cndmask_b32_e64 v47, v93, v87, s8
	v_cndmask_b32_e64 v48, v94, v86, s8
	;; [unrolled: 1-line block ×6, first 2 shown]
	v_cmp_eq_u32_e64 s8, 4, v136
	v_cndmask_b32_e64 v35, v35, 0, vcc_lo
	v_cndmask_b32_e64 v40, v40, 0, s7
	v_cndmask_b32_e64 v39, v39, 0, vcc_lo
	v_cmp_eq_u32_e64 s9, 4, v141
	v_cndmask_b32_e64 v34, v34, 0, s8
	v_cndmask_b32_e64 v104, v107, v80, s5
	v_mov_b32_e32 v118, v38
	v_cndmask_b32_e64 v43, v43, 0, s9
	v_fma_f64 v[26:27], v[26:27], v[30:31], v[26:27]
	v_fma_f64 v[28:29], v[28:29], v[32:33], v[28:29]
	v_cndmask_b32_e64 v32, v39, 0, s8
	v_cndmask_b32_e64 v33, v40, 0, s9
	v_mul_f64 v[30:31], v[41:42], v[26:27]
	v_fma_f64 v[20:21], -v[20:21], v[30:31], v[41:42]
	v_cndmask_b32_e64 v41, v44, 0, s7
	v_cndmask_b32_e64 v42, v45, 0, vcc_lo
	v_cndmask_b32_e64 v44, v46, 0, s7
	v_cndmask_b32_e64 v45, v47, 0, vcc_lo
	v_cndmask_b32_e64 v46, v48, 0, vcc_lo
	v_cndmask_b32_e64 v47, v49, 0, s7
	v_cndmask_b32_e64 v48, v92, 0, s7
	v_cndmask_b32_e64 v49, v93, 0, vcc_lo
	v_cndmask_b32_e64 v92, v94, 0, vcc_lo
	v_cndmask_b32_e64 v93, v95, 0, s7
	v_cndmask_b32_e64 v94, v102, 0, s7
	v_cmp_eq_u32_e64 s7, 5, v136
	s_mov_b32 vcc_lo, s10
	v_cndmask_b32_e64 v102, v35, 0, s8
	v_cndmask_b32_e64 v39, v44, 0, s9
	v_cndmask_b32_e64 v40, v45, 0, s8
	v_cndmask_b32_e64 v95, v34, 0, s7
	v_div_scale_f64 v[34:35], s11, v[22:23], v[6:7], v[22:23]
	v_cndmask_b32_e64 v45, v92, 0, s8
	v_cndmask_b32_e64 v44, v49, 0, s8
	v_div_fmas_f64 v[20:21], v[20:21], v[26:27], v[30:31]
	v_cmp_eq_u32_e32 vcc_lo, 5, v141
	v_cndmask_b32_e64 v30, v41, 0, s9
	v_cndmask_b32_e64 v31, v42, 0, s8
	;; [unrolled: 1-line block ×4, first 2 shown]
	v_cndmask_b32_e64 v26, v43, 0, vcc_lo
	v_cndmask_b32_e64 v43, v48, 0, s9
	v_cndmask_b32_e64 v46, v93, 0, s9
	;; [unrolled: 1-line block ×3, first 2 shown]
	v_cmp_eq_u32_e64 s9, 6, v141
	v_cmp_eq_u32_e64 s8, 6, v136
	v_cndmask_b32_e64 v49, v102, 0, s7
	v_cndmask_b32_e64 v30, v30, 0, vcc_lo
	v_cmp_eq_u32_e64 s10, 7, v141
	v_cndmask_b32_e64 v92, v26, 0, s9
	v_cndmask_b32_e64 v48, v95, 0, s8
	v_mul_f64 v[26:27], v[34:35], v[28:29]
	v_cndmask_b32_e64 v30, v30, 0, s9
	v_div_fixup_f64 v[8:9], v[20:21], v[16:17], v[8:9]
	v_cndmask_b32_e64 v16, v31, 0, s7
	v_cndmask_b32_e64 v20, v32, 0, s7
	v_cndmask_b32_e64 v32, v39, 0, vcc_lo
	v_cndmask_b32_e64 v39, v41, 0, s7
	v_cndmask_b32_e64 v41, v43, 0, vcc_lo
	;; [unrolled: 2-line block ×3, first 2 shown]
	v_cndmask_b32_e64 v47, v49, 0, s8
	v_cndmask_b32_e64 v49, v16, 0, s8
	v_cndmask_b32_e64 v31, v33, 0, vcc_lo
	v_cndmask_b32_e64 v33, v40, 0, s7
	v_cndmask_b32_e64 v40, v42, 0, vcc_lo
	;; [unrolled: 2-line block ×3, first 2 shown]
	v_cmp_eq_u32_e64 s7, 7, v136
	v_cndmask_b32_e64 v30, v30, 0, s10
	s_mov_b32 vcc_lo, s11
	v_fma_f64 v[16:17], -v[24:25], v[26:27], v[34:35]
	v_cndmask_b32_e64 v34, v20, 0, s8
	v_cndmask_b32_e64 v46, v48, 0, s7
	v_cndmask_b32_e64 v48, v92, 0, s10
	v_add_f64 v[20:21], -v[8:9], 1.0
	v_cndmask_b32_e64 v24, v31, 0, s9
	v_cndmask_b32_e64 v31, v32, 0, s9
	;; [unrolled: 1-line block ×8, first 2 shown]
	v_cmp_eq_u32_e64 s9, 8, v141
	v_cndmask_b32_e64 v44, v24, 0, s10
	v_cndmask_b32_e64 v31, v31, 0, s10
	;; [unrolled: 1-line block ×8, first 2 shown]
	v_div_fmas_f64 v[16:17], v[16:17], v[28:29], v[26:27]
	v_cndmask_b32_e64 v26, v44, 0, s9
	v_cndmask_b32_e64 v29, v33, 0, s9
	v_cmp_eq_u32_e32 vcc_lo, 8, v136
	v_mul_f64 v[27:28], v[24:25], v[20:21]
	v_cndmask_b32_e64 v25, v31, 0, s9
	v_cndmask_b32_e64 v31, v41, 0, s10
	;; [unrolled: 1-line block ×3, first 2 shown]
	v_mul_f64 v[29:30], v[29:30], v[20:21]
	v_cndmask_b32_e64 v33, v46, 0, vcc_lo
	v_mul_f64 v[24:25], v[25:26], v[20:21]
	v_cndmask_b32_e64 v32, v31, 0, s9
	v_cndmask_b32_e64 v31, v41, 0, s9
	;; [unrolled: 1-line block ×6, first 2 shown]
	v_mul_f64 v[20:21], v[31:32], v[20:21]
	v_cndmask_b32_e64 v31, v49, 0, s7
	v_cndmask_b32_e64 v32, v41, 0, vcc_lo
	v_cndmask_b32_e64 v39, v39, 0, s7
	v_cndmask_b32_e64 v26, v26, 0, s7
	v_div_fixup_f64 v[22:23], v[16:17], v[6:7], v[22:23]
	v_cndmask_b32_e64 v7, v31, 0, vcc_lo
	v_cndmask_b32_e64 v6, v34, 0, vcc_lo
	;; [unrolled: 1-line block ×3, first 2 shown]
	v_fma_f64 v[92:93], v[32:33], v[8:9], v[27:28]
	v_cndmask_b32_e64 v27, v40, 0, s7
	v_cndmask_b32_e64 v16, v39, 0, vcc_lo
	v_cndmask_b32_e64 v28, v119, v87, s5
	v_cmp_eq_u32_e64 s7, 4, v139
	v_mov_b32_e32 v119, v38
	v_fma_f64 v[6:7], v[6:7], v[8:9], v[24:25]
	v_cndmask_b32_e64 v25, v27, 0, vcc_lo
	v_cndmask_b32_e64 v24, v26, 0, vcc_lo
	v_fma_f64 v[102:103], v[16:17], v[8:9], v[29:30]
	v_cndmask_b32_e64 v16, v120, v86, s5
	v_cndmask_b32_e64 v17, v121, v87, s6
	;; [unrolled: 1-line block ×3, first 2 shown]
	v_fma_f64 v[106:107], v[24:25], v[8:9], v[20:21]
	v_cndmask_b32_e64 v20, v123, v97, s5
	v_cndmask_b32_e64 v21, v128, v96, s5
	;; [unrolled: 1-line block ×4, first 2 shown]
	v_cmp_eq_u32_e32 vcc_lo, 3, v138
	v_cmp_eq_u32_e64 s5, 3, v139
	v_cmp_eq_u32_e64 s6, 4, v138
	v_add_f64 v[8:9], -v[22:23], 1.0
	v_mov_b32_e32 v120, v38
	v_cndmask_b32_e32 v27, v108, v93, vcc_lo
	v_cndmask_b32_e32 v29, v104, v92, vcc_lo
	v_cndmask_b32_e64 v30, v109, v93, s5
	v_cndmask_b32_e64 v31, v105, v92, s5
	v_mov_b32_e32 v121, v38
	v_cndmask_b32_e32 v32, v116, v7, vcc_lo
	v_cndmask_b32_e64 v34, v37, v7, s5
	v_cndmask_b32_e64 v35, v36, v6, s5
	v_cndmask_b32_e32 v16, v16, v102, vcc_lo
	v_cndmask_b32_e64 v17, v17, v103, s5
	v_cndmask_b32_e64 v26, v26, v102, s5
	v_cndmask_b32_e32 v33, v117, v6, vcc_lo
	v_cndmask_b32_e32 v20, v20, v107, vcc_lo
	;; [unrolled: 1-line block ×3, first 2 shown]
	v_cndmask_b32_e64 v24, v24, v107, s5
	v_cndmask_b32_e64 v25, v25, v106, s5
	v_cndmask_b32_e32 v28, v28, v103, vcc_lo
	v_cndmask_b32_e64 v27, v27, 0, s6
	v_cmp_eq_u32_e32 vcc_lo, 5, v138
	v_cndmask_b32_e64 v29, v29, 0, s6
	v_cndmask_b32_e64 v30, v30, 0, s7
	v_cmp_eq_u32_e64 s5, 5, v139
	v_cndmask_b32_e64 v31, v31, 0, s7
	v_cndmask_b32_e64 v32, v32, 0, s6
	;; [unrolled: 1-line block ×13, first 2 shown]
	v_cndmask_b32_e64 v27, v27, 0, vcc_lo
	v_cmp_eq_u32_e64 s6, 6, v138
	v_cndmask_b32_e64 v29, v29, 0, vcc_lo
	v_cndmask_b32_e64 v30, v30, 0, s5
	v_cmp_eq_u32_e64 s7, 6, v139
	v_cndmask_b32_e64 v31, v31, 0, s5
	v_cndmask_b32_e64 v32, v32, 0, vcc_lo
	v_cndmask_b32_e64 v34, v34, 0, s5
	v_cndmask_b32_e64 v35, v35, 0, s5
	v_cndmask_b32_e64 v16, v16, 0, vcc_lo
	v_cndmask_b32_e64 v17, v17, 0, s5
	v_cndmask_b32_e64 v26, v26, 0, s5
	v_cndmask_b32_e64 v20, v20, 0, vcc_lo
	v_cndmask_b32_e64 v36, v21, 0, vcc_lo
	v_cndmask_b32_e64 v21, v24, 0, s5
	v_cndmask_b32_e64 v24, v25, 0, s5
	v_cndmask_b32_e64 v33, v33, 0, vcc_lo
	v_cndmask_b32_e64 v28, v28, 0, vcc_lo
	v_cndmask_b32_e64 v37, v27, 0, s6
	v_cndmask_b32_e64 v39, v29, 0, s6
	;; [unrolled: 1-line block ×3, first 2 shown]
	v_cmp_eq_u32_e64 s5, 7, v139
	v_cndmask_b32_e64 v27, v31, 0, s7
	v_cndmask_b32_e64 v30, v32, 0, s6
	;; [unrolled: 1-line block ×13, first 2 shown]
	v_cmp_eq_u32_e64 s7, 8, v139
	v_cndmask_b32_e64 v25, v27, 0, s5
	v_cndmask_b32_e64 v26, v29, 0, s5
	;; [unrolled: 1-line block ×15, first 2 shown]
	v_mul_f64 v[28:29], v[8:9], v[16:17]
	v_mul_f64 v[20:21], v[8:9], v[20:21]
	;; [unrolled: 1-line block ×3, first 2 shown]
	v_cmp_eq_u32_e32 vcc_lo, 7, v138
	v_mul_f64 v[26:27], v[8:9], v[26:27]
	v_cndmask_b32_e64 v32, v36, 0, s6
	v_cmp_eq_u32_e64 s5, 8, v138
	v_mov_b32_e32 v116, v38
	v_cndmask_b32_e64 v8, v37, 0, vcc_lo
	v_cndmask_b32_e64 v16, v39, 0, vcc_lo
	;; [unrolled: 1-line block ×8, first 2 shown]
	v_cndmask_b32_e64 v9, v8, 0, s5
	v_cndmask_b32_e64 v8, v16, 0, s5
	;; [unrolled: 1-line block ×8, first 2 shown]
	v_fma_f64 v[94:95], v[22:23], v[8:9], v[28:29]
	v_fma_f64 v[8:9], v[22:23], v[30:31], v[20:21]
	;; [unrolled: 1-line block ×3, first 2 shown]
	v_mov_b32_e32 v16, v38
	v_fma_f64 v[108:109], v[22:23], v[34:35], v[26:27]
	v_mov_b32_e32 v17, v38
	v_mov_b32_e32 v122, v38
	;; [unrolled: 1-line block ×7, first 2 shown]
.LBB2_10:
	s_or_b32 exec_lo, exec_lo, s13
	s_mov_b32 s5, 0
	buffer_store_dword v140, off, s[0:3], 0 offset:80
	s_branch .LBB2_12
.LBB2_11:                               ;   in Loop: Header=BB2_12 Depth=1
	s_or_b32 exec_lo, exec_lo, s7
	s_waitcnt vmcnt(0)
	v_cmp_gt_i32_e32 vcc_lo, 0, v19
	v_mov_b32_e32 v38, v19
	s_or_b32 s5, vcc_lo, s5
	s_andn2_b32 exec_lo, exec_lo, s5
	s_cbranch_execz .LBB2_18
.LBB2_12:                               ; =>This Inner Loop Header: Depth=1
	v_lshlrev_b32_e32 v19, 2, v38
	s_mov_b32 s6, 0
	s_mov_b32 s7, exec_lo
	v_mov_b32_e32 v20, v19
	v_add_nc_u32_e32 v19, v20, v19
	s_clause 0x2
	buffer_load_dword v21, v19, s[0:3], 0 offen
	buffer_load_dword v22, v19, s[0:3], 0 offen offset:4
	buffer_load_dword v19, v20, s[0:3], 0 offen offset:40
	s_waitcnt vmcnt(1)
	v_cmpx_ngt_f64_e32 0, v[21:22]
	s_xor_b32 s7, exec_lo, s7
	s_cbranch_execnz .LBB2_15
; %bb.13:                               ;   in Loop: Header=BB2_12 Depth=1
	s_or_saveexec_b32 s7, s7
	v_mov_b32_e32 v21, 0x50
	s_xor_b32 exec_lo, exec_lo, s7
	s_cbranch_execnz .LBB2_16
.LBB2_14:                               ;   in Loop: Header=BB2_12 Depth=1
	s_or_b32 exec_lo, exec_lo, s7
	s_and_saveexec_b32 s7, s6
	s_cbranch_execz .LBB2_11
	s_branch .LBB2_17
.LBB2_15:                               ;   in Loop: Header=BB2_12 Depth=1
	buffer_load_dword v20, off, s[0:3], 0 offset:80
	s_waitcnt vmcnt(0)
	v_cmp_eq_u32_e32 vcc_lo, -1, v20
                                        ; implicit-def: $vgpr20
	s_and_b32 s6, vcc_lo, exec_lo
	s_or_saveexec_b32 s7, s7
	v_mov_b32_e32 v21, 0x50
	s_xor_b32 exec_lo, exec_lo, s7
	s_cbranch_execz .LBB2_14
.LBB2_16:                               ;   in Loop: Header=BB2_12 Depth=1
	buffer_load_dword v22, off, s[0:3], 0 offset:84
	v_mov_b32_e32 v21, 0x54
	s_or_b32 s6, s6, exec_lo
	s_waitcnt vmcnt(0)
	buffer_store_dword v22, v20, s[0:3], 0 offen offset:40
	s_or_b32 exec_lo, exec_lo, s7
	s_and_saveexec_b32 s7, s6
	s_cbranch_execz .LBB2_11
.LBB2_17:                               ;   in Loop: Header=BB2_12 Depth=1
	buffer_store_dword v38, v21, s[0:3], 0 offen
	s_branch .LBB2_11
.LBB2_18:
	s_or_b32 exec_lo, exec_lo, s5
	s_and_saveexec_b32 s5, s4
	s_cbranch_execz .LBB2_20
; %bb.19:
	v_cmp_gt_f64_e32 vcc_lo, 0, v[110:111]
	v_lshl_add_u32 v21, v136, 2, 0
	v_lshl_add_u32 v20, v142, 2, 0
	;; [unrolled: 1-line block ×3, first 2 shown]
	s_or_b32 s4, s12, vcc_lo
	v_cndmask_b32_e64 v22, v137, -1, s4
	buffer_store_dword v142, v21, s[0:3], 0 offen offset:40
	buffer_store_dword v18, v20, s[0:3], 0 offen offset:40
	;; [unrolled: 1-line block ×3, first 2 shown]
.LBB2_20:
	s_or_b32 exec_lo, exec_lo, s5
	buffer_load_dword v24, off, s[0:3], 0 offset:80
	v_mov_b32_e32 v25, -1
	v_mov_b32_e32 v26, -1
	;; [unrolled: 1-line block ×4, first 2 shown]
	s_mov_b32 s51, 0
	v_mov_b32_e32 v21, -1
	v_mov_b32_e32 v22, -1
	s_waitcnt vmcnt(0)
	v_cmp_eq_u32_e32 vcc_lo, 1, v24
	v_cmp_eq_u32_e64 s4, 7, v24
	v_cndmask_b32_e32 v18, v85, v83, vcc_lo
	v_cndmask_b32_e32 v19, v84, v82, vcc_lo
	v_cmp_eq_u32_e32 vcc_lo, 2, v24
	v_cndmask_b32_e32 v18, v18, v81, vcc_lo
	v_cndmask_b32_e32 v19, v19, v80, vcc_lo
	v_cmp_eq_u32_e32 vcc_lo, 3, v24
	;; [unrolled: 3-line block ×6, first 2 shown]
	v_cndmask_b32_e64 v18, v18, v113, s4
	v_cndmask_b32_e64 v23, v19, v125, s4
	v_cmp_lt_i32_e64 s4, -1, v24
	v_cndmask_b32_e32 v19, v18, v112, vcc_lo
	v_cndmask_b32_e32 v18, v23, v124, vcc_lo
	s_and_saveexec_b32 s9, s4
	s_cbranch_execz .LBB2_24
; %bb.21:
	v_mov_b32_e32 v23, v19
	v_mov_b32_e32 v25, -1
	v_mov_b32_e32 v27, v24
	v_mov_b32_e32 v20, -1
	v_mov_b32_e32 v21, -1
	v_mov_b32_e32 v26, -1
	v_mov_b32_e32 v22, v18
	s_mov_b32 s10, 0
                                        ; implicit-def: $sgpr11
.LBB2_22:                               ; =>This Inner Loop Header: Depth=1
	v_lshl_add_u32 v28, v27, 2, 0
	v_cmp_gt_f64_e64 s7, 0, v[22:23]
	buffer_load_dword v30, v28, s[0:3], 0 offen offset:40
	s_waitcnt vmcnt(0)
	v_cmp_gt_i32_e32 vcc_lo, 0, v30
	v_cndmask_b32_e32 v31, v30, v24, vcc_lo
	v_cmp_eq_u32_e64 s5, 1, v31
	v_cndmask_b32_e64 v28, v85, v83, s5
	v_cndmask_b32_e64 v29, v84, v82, s5
	v_cmp_eq_u32_e64 s5, 2, v31
	v_cndmask_b32_e64 v28, v28, v81, s5
	v_cndmask_b32_e64 v29, v29, v80, s5
	v_cmp_eq_u32_e64 s5, 3, v31
	v_cndmask_b32_e64 v28, v28, v93, s5
	v_cndmask_b32_e64 v29, v29, v92, s5
	v_cmp_eq_u32_e64 s5, 4, v31
	v_cndmask_b32_e64 v28, v28, v95, s5
	v_cndmask_b32_e64 v29, v29, v94, s5
	v_cmp_eq_u32_e64 s5, 5, v31
	v_cndmask_b32_e64 v28, v28, v115, s5
	v_cndmask_b32_e64 v29, v29, v127, s5
	v_cmp_eq_u32_e64 s5, 6, v31
	v_cndmask_b32_e64 v28, v28, v114, s5
	v_cndmask_b32_e64 v29, v29, v126, s5
	v_cmp_eq_u32_e64 s5, 7, v31
	v_cndmask_b32_e64 v28, v28, v113, s5
	v_cndmask_b32_e64 v32, v29, v125, s5
	v_cmp_eq_u32_e64 s5, 8, v31
	v_cndmask_b32_e64 v29, v28, v112, s5
	v_cndmask_b32_e64 v28, v32, v124, s5
	v_cmp_le_f64_e64 s5, 0, v[22:23]
	v_cmp_gt_f64_e64 s6, 0, v[28:29]
	v_cmp_le_f64_e64 s8, 0, v[28:29]
	v_mov_b32_e32 v22, v28
	v_mov_b32_e32 v23, v29
	s_and_b32 s5, s5, s6
	s_and_b32 s6, s7, s8
	v_cndmask_b32_e64 v21, v21, v31, s5
	v_cndmask_b32_e64 v26, v26, v31, s6
	s_or_b32 s10, vcc_lo, s10
	v_cndmask_b32_e64 v25, v25, v27, s5
	v_cndmask_b32_e64 v20, v20, v27, s6
	v_mov_b32_e32 v27, v30
	s_andn2_b32 s5, s11, exec_lo
	s_and_b32 s6, s7, exec_lo
	s_or_b32 s11, s5, s6
	s_andn2_b32 exec_lo, exec_lo, s10
	s_cbranch_execnz .LBB2_22
; %bb.23:
	s_or_b32 exec_lo, exec_lo, s10
	s_and_b32 s51, s11, exec_lo
.LBB2_24:
	s_or_b32 exec_lo, exec_lo, s9
	v_mov_b32_e32 v27, -1
	v_cmp_lt_i32_e64 s5, -1, v25
	v_mov_b32_e32 v22, -1
	v_mov_b32_e32 v23, -1
	s_and_saveexec_b32 s52, s5
	s_cbranch_execz .LBB2_26
; %bb.25:
	buffer_load_dword v22, off, s[0:3], 0 offset:84
	v_cmp_eq_u32_e64 s31, 1, v21
	v_cmp_eq_u32_e64 s33, 1, v25
	;; [unrolled: 1-line block ×5, first 2 shown]
	v_cndmask_b32_e64 v23, v85, v83, s31
	v_cndmask_b32_e64 v28, v84, v82, s31
	;; [unrolled: 1-line block ×4, first 2 shown]
	v_cmp_eq_u32_e64 s35, 3, v25
	v_cndmask_b32_e64 v23, v23, v81, s38
	v_cndmask_b32_e64 v28, v28, v80, s38
	;; [unrolled: 1-line block ×4, first 2 shown]
	v_cmp_eq_u32_e64 s43, 4, v21
	v_cndmask_b32_e64 v23, v23, v93, s42
	v_cndmask_b32_e64 v28, v28, v92, s42
	;; [unrolled: 1-line block ×3, first 2 shown]
	v_cmp_eq_u32_e64 s36, 4, v25
	v_cndmask_b32_e64 v30, v30, v92, s35
	v_cndmask_b32_e64 v23, v23, v95, s43
	v_cmp_eq_u32_e64 s44, 5, v21
	v_cndmask_b32_e64 v28, v28, v94, s43
	v_cndmask_b32_e64 v29, v29, v95, s36
	;; [unrolled: 3-line block ×9, first 2 shown]
	v_cndmask_b32_e64 v28, v21, v124, s47
	v_cmp_eq_u32_e64 s6, 1, v20
	v_cndmask_b32_e64 v31, v31, v112, s41
	v_cndmask_b32_e64 v30, v30, v124, s41
	v_cmp_eq_u32_e64 s7, 1, v26
	v_add_f64 v[32:33], -v[28:29], 0
	v_cmp_eq_u32_e64 s24, 2, v20
	v_cmp_eq_u32_e64 s8, 2, v26
	v_add_f64 v[34:35], v[30:31], -v[28:29]
	v_cmp_eq_u32_e64 s25, 3, v20
	v_cmp_eq_u32_e64 s18, 3, v26
	;; [unrolled: 1-line block ×12, first 2 shown]
	v_div_scale_f64 v[36:37], null, v[34:35], v[34:35], v[32:33]
	v_rcp_f64_e32 v[38:39], v[36:37]
	v_fma_f64 v[40:41], -v[36:37], v[38:39], 1.0
	v_fma_f64 v[38:39], v[38:39], v[40:41], v[38:39]
	v_fma_f64 v[40:41], -v[36:37], v[38:39], 1.0
	v_fma_f64 v[38:39], v[38:39], v[40:41], v[38:39]
	v_div_scale_f64 v[40:41], vcc_lo, v[32:33], v[34:35], v[32:33]
	v_mul_f64 v[42:43], v[40:41], v[38:39]
	v_fma_f64 v[36:37], -v[36:37], v[42:43], v[40:41]
	v_div_fmas_f64 v[36:37], v[36:37], v[38:39], v[42:43]
	v_div_fixup_f64 v[43:44], v[36:37], v[34:35], v[32:33]
	v_add_f64 v[45:46], -v[43:44], 1.0
	s_waitcnt vmcnt(0)
	v_lshl_add_u32 v21, v22, 2, 0
	v_mul_f64 v[28:29], v[28:29], v[45:46]
	v_cmp_eq_u32_e64 s10, 1, v22
	v_cmp_eq_u32_e64 s9, 0, v22
	;; [unrolled: 1-line block ×3, first 2 shown]
	buffer_load_dword v23, v21, s[0:3], 0 offen offset:40
	v_cmp_eq_u32_e64 s14, 7, v22
	v_cmp_eq_u32_e64 s12, 6, v22
	;; [unrolled: 1-line block ×6, first 2 shown]
	v_fma_f64 v[47:48], v[30:31], v[43:44], v[28:29]
	v_cndmask_b32_e64 v28, v82, v47, s10
	v_cndmask_b32_e64 v21, v84, v47, s9
	;; [unrolled: 1-line block ×59, first 2 shown]
	v_add_f64 v[82:83], -v[47:48], 0
	v_cndmask_b32_e64 v127, v99, v101, s31
	v_add_f64 v[84:85], v[80:81], -v[47:48]
	v_cndmask_b32_e64 v20, v20, v5, s38
	v_cndmask_b32_e64 v125, v125, v105, s43
	v_cndmask_b32_e64 v20, v20, v7, s42
	v_cndmask_b32_e64 v125, v125, v118, s44
	v_cndmask_b32_e64 v20, v20, v9, s43
	v_cndmask_b32_e64 v125, v125, v116, s45
	v_cndmask_b32_e64 v20, v20, v11, s44
	v_cndmask_b32_e64 v125, v125, v119, s46
	v_cndmask_b32_e64 v20, v20, v13, s45
	v_div_scale_f64 v[92:93], null, v[84:85], v[84:85], v[82:83]
	v_cndmask_b32_e64 v20, v20, v15, s46
	v_rcp_f64_e32 v[94:95], v[92:93]
	v_fma_f64 v[110:111], -v[92:93], v[94:95], 1.0
	v_fma_f64 v[94:95], v[94:95], v[110:111], v[94:95]
	v_cndmask_b32_e64 v110, v112, v8, s43
	v_cndmask_b32_e64 v111, v1, v3, s33
	;; [unrolled: 1-line block ×15, first 2 shown]
	v_fma_f64 v[110:111], -v[92:93], v[94:95], 1.0
	v_cndmask_b32_e64 v20, v20, v10, s37
	v_mul_f64 v[112:113], v[112:113], v[45:46]
	v_cndmask_b32_e64 v114, v114, v13, s39
	v_cndmask_b32_e64 v20, v20, v12, s39
	;; [unrolled: 1-line block ×7, first 2 shown]
	v_fma_f64 v[94:95], v[94:95], v[110:111], v[94:95]
	v_div_scale_f64 v[110:111], vcc_lo, v[82:83], v[84:85], v[82:83]
	v_fma_f64 v[112:113], v[114:115], v[43:44], v[112:113]
	v_cndmask_b32_e64 v115, v20, v87, s34
	v_cndmask_b32_e64 v124, v115, v103, s35
	;; [unrolled: 1-line block ×26, first 2 shown]
	s_waitcnt vmcnt(0)
	v_lshl_add_u32 v114, v23, 2, 0
	buffer_load_dword v20, v114, s[0:3], 0 offen offset:40
	v_mul_f64 v[114:115], v[110:111], v[94:95]
	v_fma_f64 v[92:93], -v[92:93], v[114:115], v[110:111]
	v_cndmask_b32_e64 v110, v124, v120, s44
	v_cndmask_b32_e64 v124, v98, v100, s31
	;; [unrolled: 1-line block ×17, first 2 shown]
	v_div_fmas_f64 v[92:93], v[92:93], v[94:95], v[114:115]
	v_cndmask_b32_e64 v114, v124, v135, s44
	v_mul_f64 v[94:95], v[110:111], v[45:46]
	v_cndmask_b32_e64 v110, v98, v100, s33
	v_cndmask_b32_e64 v111, v125, v97, s34
	;; [unrolled: 1-line block ×18, first 2 shown]
	v_mul_f64 v[45:46], v[110:111], v[45:46]
	v_div_fixup_f64 v[110:111], v[92:93], v[84:85], v[82:83]
	v_cndmask_b32_e64 v12, v12, v135, s37
	v_fma_f64 v[82:83], v[114:115], v[43:44], v[94:95]
	v_cndmask_b32_e64 v6, v124, v129, s39
	v_cmp_eq_u32_e32 vcc_lo, 8, v23
	v_cndmask_b32_e64 v12, v12, v134, s39
	v_cndmask_b32_e64 v0, v6, v131, s40
	;; [unrolled: 1-line block ×5, first 2 shown]
	v_fma_f64 v[4:5], v[12:13], v[43:44], v[45:46]
	v_cndmask_b32_e64 v43, v3, v113, s10
	v_cndmask_b32_e64 v44, v1, v113, s9
	v_add_f64 v[6:7], -v[110:111], 1.0
	v_cndmask_b32_e64 v3, v141, v140, s6
	v_cndmask_b32_e64 v12, v141, v140, s7
	;; [unrolled: 1-line block ×21, first 2 shown]
	v_mul_f64 v[0:1], v[47:48], v[6:7]
	v_cndmask_b32_e64 v47, v132, v4, s14
	v_cndmask_b32_e64 v2, v2, v11, s27
	;; [unrolled: 1-line block ×25, first 2 shown]
	v_fma_f64 v[0:1], v[80:81], v[110:111], v[0:1]
	v_cmp_eq_u32_e64 s11, 5, v23
	v_cndmask_b32_e64 v3, v2, v17, s30
	v_cndmask_b32_e64 v2, v5, v16, s30
	;; [unrolled: 1-line block ×4, first 2 shown]
	v_cmp_eq_u32_e64 s12, 4, v23
	v_cndmask_b32_e64 v87, v87, v83, s16
	v_mul_f64 v[2:3], v[2:3], v[6:7]
	v_cndmask_b32_e64 v4, v4, v11, s19
	v_cndmask_b32_e64 v5, v5, v10, s19
	;; [unrolled: 1-line block ×18, first 2 shown]
	v_cmp_eq_u32_e64 s9, 7, v23
	v_cmp_eq_u32_e64 s10, 6, v23
	v_cmp_eq_u32_e64 s13, 3, v23
	v_fma_f64 v[34:35], v[4:5], v[110:111], v[2:3]
	v_cndmask_b32_e64 v2, v91, v89, s7
	v_cndmask_b32_e64 v3, v91, v89, s6
	;; [unrolled: 1-line block ×3, first 2 shown]
	v_cmp_eq_u32_e64 s14, 2, v23
	v_cmp_eq_u32_e64 s15, 1, v23
	v_cndmask_b32_e64 v2, v2, v87, s8
	v_cndmask_b32_e64 v3, v3, v87, s24
	;; [unrolled: 1-line block ×3, first 2 shown]
	v_cmp_eq_u32_e64 s16, 0, v23
	v_cndmask_b32_e64 v104, v104, v82, s17
	v_cndmask_b32_e64 v2, v2, v103, s18
	v_cndmask_b32_e32 v112, v42, v1, vcc_lo
	v_cndmask_b32_e64 v113, v40, v1, s9
	v_cndmask_b32_e64 v114, v41, v1, s10
	;; [unrolled: 1-line block ×11, first 2 shown]
	v_cndmask_b32_e32 v124, v38, v0, vcc_lo
	v_cndmask_b32_e64 v125, v36, v0, s9
	v_cndmask_b32_e64 v126, v37, v0, s10
	;; [unrolled: 1-line block ×35, first 2 shown]
	v_mul_f64 v[0:1], v[0:1], v[6:7]
	v_cndmask_b32_e64 v3, v3, v120, s19
	v_cndmask_b32_e64 v4, v4, v48, s28
	;; [unrolled: 1-line block ×11, first 2 shown]
	v_cndmask_b32_e32 v17, v17, v35, vcc_lo
	v_cndmask_b32_e64 v30, v5, v109, s20
	v_cndmask_b32_e64 v3, v2, v130, s30
	;; [unrolled: 1-line block ×6, first 2 shown]
	v_cndmask_b32_e32 v16, v16, v34, vcc_lo
	v_mul_f64 v[28:29], v[2:3], v[6:7]
	v_cndmask_b32_e64 v2, v30, v128, s19
	v_cndmask_b32_e64 v3, v13, v135, s19
	v_fma_f64 v[30:31], v[4:5], v[110:111], v[0:1]
	v_cndmask_b32_e64 v15, v15, v35, s9
	v_cndmask_b32_e64 v14, v14, v34, s9
	v_cndmask_b32_e64 v0, v2, v129, s21
	v_cndmask_b32_e64 v1, v3, v48, s21
	v_cndmask_b32_e64 v13, v142, v35, s10
	v_cndmask_b32_e64 v12, v137, v34, s10
	v_cndmask_b32_e64 v11, v11, v35, s11
	v_cndmask_b32_e64 v0, v0, v131, s22
	v_cndmask_b32_e64 v2, v1, v47, s22
	v_cndmask_b32_e64 v10, v10, v34, s11
	v_cndmask_b32_e64 v9, v9, v35, s12
	v_cndmask_b32_e64 v8, v8, v34, s12
	v_cndmask_b32_e64 v1, v0, v130, s23
	v_cndmask_b32_e64 v0, v2, v133, s23
	v_cndmask_b32_e64 v7, v143, v35, s13
	v_cndmask_b32_e64 v6, v138, v34, s13
	v_cndmask_b32_e64 v5, v144, v35, s14
	v_cndmask_b32_e64 v4, v139, v34, s14
	v_fma_f64 v[28:29], v[0:1], v[110:111], v[28:29]
	v_cndmask_b32_e64 v3, v43, v35, s15
	v_cndmask_b32_e64 v2, v140, v34, s15
	;; [unrolled: 1-line block ×4, first 2 shown]
	v_cndmask_b32_e32 v117, v117, v31, vcc_lo
	v_cndmask_b32_e32 v123, v45, v30, vcc_lo
	v_cndmask_b32_e64 v119, v119, v31, s9
	v_cndmask_b32_e64 v122, v46, v30, s9
	;; [unrolled: 1-line block ×16, first 2 shown]
	v_cndmask_b32_e32 v130, v130, v29, vcc_lo
	v_cndmask_b32_e32 v133, v133, v28, vcc_lo
	v_cndmask_b32_e64 v131, v131, v29, s9
	v_cndmask_b32_e64 v132, v47, v28, s9
	;; [unrolled: 1-line block ×16, first 2 shown]
	s_waitcnt vmcnt(0)
	buffer_store_dword v20, off, s[0:3], 0 offset:84
.LBB2_26:
	s_or_b32 exec_lo, exec_lo, s52
	buffer_store_dword v27, off, s[0:3], 0 offset:80
	s_and_saveexec_b32 s6, s4
	s_cbranch_execz .LBB2_35
; %bb.27:
	s_mov_b32 s7, 0
	s_branch .LBB2_29
.LBB2_28:                               ;   in Loop: Header=BB2_29 Depth=1
	s_or_b32 exec_lo, exec_lo, s9
	s_waitcnt vmcnt(0)
	v_cmp_gt_i32_e32 vcc_lo, 0, v20
	v_mov_b32_e32 v24, v20
	s_or_b32 s7, vcc_lo, s7
	s_andn2_b32 exec_lo, exec_lo, s7
	s_cbranch_execz .LBB2_35
.LBB2_29:                               ; =>This Inner Loop Header: Depth=1
	v_lshl_add_u32 v21, v24, 2, 0
	v_cmp_eq_u32_e32 vcc_lo, 1, v24
	s_mov_b32 s8, 0
	s_mov_b32 s9, exec_lo
	buffer_load_dword v20, v21, s[0:3], 0 offen offset:40
	v_cndmask_b32_e32 v27, v85, v83, vcc_lo
	v_cndmask_b32_e32 v28, v84, v82, vcc_lo
	v_cmp_eq_u32_e32 vcc_lo, 2, v24
	v_cndmask_b32_e32 v27, v27, v81, vcc_lo
	v_cndmask_b32_e32 v28, v28, v80, vcc_lo
	v_cmp_eq_u32_e32 vcc_lo, 3, v24
	;; [unrolled: 3-line block ×7, first 2 shown]
	v_cndmask_b32_e32 v28, v27, v112, vcc_lo
	v_cndmask_b32_e32 v27, v29, v124, vcc_lo
	v_cmpx_ngt_f64_e32 0, v[27:28]
	s_xor_b32 s9, exec_lo, s9
	s_cbranch_execnz .LBB2_32
; %bb.30:                               ;   in Loop: Header=BB2_29 Depth=1
	s_or_saveexec_b32 s9, s9
	v_mov_b32_e32 v27, 0x50
	s_xor_b32 exec_lo, exec_lo, s9
	s_cbranch_execnz .LBB2_33
.LBB2_31:                               ;   in Loop: Header=BB2_29 Depth=1
	s_or_b32 exec_lo, exec_lo, s9
	s_and_saveexec_b32 s9, s8
	s_cbranch_execz .LBB2_28
	s_branch .LBB2_34
.LBB2_32:                               ;   in Loop: Header=BB2_29 Depth=1
	buffer_load_dword v21, off, s[0:3], 0 offset:80
	s_waitcnt vmcnt(0)
	v_cmp_eq_u32_e32 vcc_lo, -1, v21
                                        ; implicit-def: $vgpr21
	s_and_b32 s8, vcc_lo, exec_lo
	s_or_saveexec_b32 s9, s9
	v_mov_b32_e32 v27, 0x50
	s_xor_b32 exec_lo, exec_lo, s9
	s_cbranch_execz .LBB2_31
.LBB2_33:                               ;   in Loop: Header=BB2_29 Depth=1
	buffer_load_dword v28, off, s[0:3], 0 offset:84
	v_mov_b32_e32 v27, 0x54
	s_or_b32 s8, s8, exec_lo
	s_waitcnt vmcnt(0)
	buffer_store_dword v28, v21, s[0:3], 0 offen offset:40
	s_or_b32 exec_lo, exec_lo, s9
	s_and_saveexec_b32 s9, s8
	s_cbranch_execz .LBB2_28
.LBB2_34:                               ;   in Loop: Header=BB2_29 Depth=1
	buffer_store_dword v24, v27, s[0:3], 0 offen
	s_branch .LBB2_28
.LBB2_35:
	s_or_b32 exec_lo, exec_lo, s6
	s_and_saveexec_b32 s6, s5
	s_cbranch_execz .LBB2_37
; %bb.36:
	v_cmp_gt_f64_e32 vcc_lo, 0, v[18:19]
	v_lshl_add_u32 v20, v25, 2, 0
	v_lshl_add_u32 v19, v22, 2, 0
	;; [unrolled: 1-line block ×3, first 2 shown]
	s_and_b32 s4, s4, vcc_lo
	s_or_b32 s4, s51, s4
	v_cndmask_b32_e64 v21, v26, -1, s4
	buffer_store_dword v22, v20, s[0:3], 0 offen offset:40
	buffer_store_dword v23, v19, s[0:3], 0 offen offset:40
	;; [unrolled: 1-line block ×3, first 2 shown]
.LBB2_37:
	s_or_b32 exec_lo, exec_lo, s6
	buffer_load_dword v24, off, s[0:3], 0 offset:80
	v_mov_b32_e32 v25, -1
	v_mov_b32_e32 v26, -1
	;; [unrolled: 1-line block ×4, first 2 shown]
	s_mov_b32 s51, 0
	v_mov_b32_e32 v21, -1
	v_mov_b32_e32 v22, -1
	s_waitcnt vmcnt(0)
	v_cmp_eq_u32_e32 vcc_lo, 1, v24
	v_cmp_eq_u32_e64 s4, 7, v24
	v_cndmask_b32_e32 v18, v1, v3, vcc_lo
	v_cndmask_b32_e32 v19, v0, v2, vcc_lo
	v_cmp_eq_u32_e32 vcc_lo, 2, v24
	v_cndmask_b32_e32 v18, v18, v5, vcc_lo
	v_cndmask_b32_e32 v19, v19, v4, vcc_lo
	v_cmp_eq_u32_e32 vcc_lo, 3, v24
	v_cndmask_b32_e32 v18, v18, v7, vcc_lo
	v_cndmask_b32_e32 v19, v19, v6, vcc_lo
	v_cmp_eq_u32_e32 vcc_lo, 4, v24
	v_cndmask_b32_e32 v18, v18, v9, vcc_lo
	v_cndmask_b32_e32 v19, v19, v8, vcc_lo
	v_cmp_eq_u32_e32 vcc_lo, 5, v24
	v_cndmask_b32_e32 v18, v18, v11, vcc_lo
	v_cndmask_b32_e32 v19, v19, v10, vcc_lo
	v_cmp_eq_u32_e32 vcc_lo, 6, v24
	v_cndmask_b32_e32 v18, v18, v13, vcc_lo
	v_cndmask_b32_e32 v19, v19, v12, vcc_lo
	v_cmp_eq_u32_e32 vcc_lo, 8, v24
	v_cndmask_b32_e64 v18, v18, v15, s4
	v_cndmask_b32_e64 v23, v19, v14, s4
	v_cmp_lt_i32_e64 s4, -1, v24
	v_cndmask_b32_e32 v19, v18, v17, vcc_lo
	v_cndmask_b32_e32 v18, v23, v16, vcc_lo
	s_and_saveexec_b32 s9, s4
	s_cbranch_execz .LBB2_41
; %bb.38:
	v_mov_b32_e32 v23, v19
	v_mov_b32_e32 v25, -1
	v_mov_b32_e32 v27, v24
	v_mov_b32_e32 v20, -1
	v_mov_b32_e32 v21, -1
	;; [unrolled: 1-line block ×3, first 2 shown]
	v_mov_b32_e32 v22, v18
	s_mov_b32 s10, 0
                                        ; implicit-def: $sgpr11
.LBB2_39:                               ; =>This Inner Loop Header: Depth=1
	v_lshl_add_u32 v28, v27, 2, 0
	v_cmp_gt_f64_e64 s7, 0, v[22:23]
	buffer_load_dword v30, v28, s[0:3], 0 offen offset:40
	s_waitcnt vmcnt(0)
	v_cmp_gt_i32_e32 vcc_lo, 0, v30
	v_cndmask_b32_e32 v31, v30, v24, vcc_lo
	v_cmp_eq_u32_e64 s5, 1, v31
	v_cndmask_b32_e64 v28, v1, v3, s5
	v_cndmask_b32_e64 v29, v0, v2, s5
	v_cmp_eq_u32_e64 s5, 2, v31
	v_cndmask_b32_e64 v28, v28, v5, s5
	v_cndmask_b32_e64 v29, v29, v4, s5
	v_cmp_eq_u32_e64 s5, 3, v31
	v_cndmask_b32_e64 v28, v28, v7, s5
	v_cndmask_b32_e64 v29, v29, v6, s5
	v_cmp_eq_u32_e64 s5, 4, v31
	v_cndmask_b32_e64 v28, v28, v9, s5
	v_cndmask_b32_e64 v29, v29, v8, s5
	v_cmp_eq_u32_e64 s5, 5, v31
	v_cndmask_b32_e64 v28, v28, v11, s5
	v_cndmask_b32_e64 v29, v29, v10, s5
	v_cmp_eq_u32_e64 s5, 6, v31
	v_cndmask_b32_e64 v28, v28, v13, s5
	v_cndmask_b32_e64 v29, v29, v12, s5
	v_cmp_eq_u32_e64 s5, 7, v31
	v_cndmask_b32_e64 v28, v28, v15, s5
	v_cndmask_b32_e64 v32, v29, v14, s5
	v_cmp_eq_u32_e64 s5, 8, v31
	v_cndmask_b32_e64 v29, v28, v17, s5
	v_cndmask_b32_e64 v28, v32, v16, s5
	v_cmp_le_f64_e64 s5, 0, v[22:23]
	v_cmp_gt_f64_e64 s6, 0, v[28:29]
	v_cmp_le_f64_e64 s8, 0, v[28:29]
	v_mov_b32_e32 v22, v28
	v_mov_b32_e32 v23, v29
	s_and_b32 s5, s5, s6
	s_and_b32 s6, s7, s8
	v_cndmask_b32_e64 v21, v21, v31, s5
	v_cndmask_b32_e64 v26, v26, v31, s6
	s_or_b32 s10, vcc_lo, s10
	v_cndmask_b32_e64 v25, v25, v27, s5
	v_cndmask_b32_e64 v20, v20, v27, s6
	v_mov_b32_e32 v27, v30
	s_andn2_b32 s5, s11, exec_lo
	s_and_b32 s6, s7, exec_lo
	s_or_b32 s11, s5, s6
	s_andn2_b32 exec_lo, exec_lo, s10
	s_cbranch_execnz .LBB2_39
; %bb.40:
	s_or_b32 exec_lo, exec_lo, s10
	s_and_b32 s51, s11, exec_lo
.LBB2_41:
	s_or_b32 exec_lo, exec_lo, s9
	v_mov_b32_e32 v27, -1
	v_cmp_lt_i32_e64 s5, -1, v25
	v_mov_b32_e32 v22, -1
	v_mov_b32_e32 v23, -1
	s_and_saveexec_b32 s52, s5
	s_cbranch_execz .LBB2_43
; %bb.42:
	buffer_load_dword v22, off, s[0:3], 0 offset:84
	v_cmp_eq_u32_e64 s11, 1, v21
	v_cmp_eq_u32_e64 s16, 1, v25
	;; [unrolled: 1-line block ×5, first 2 shown]
	v_cndmask_b32_e64 v23, v1, v3, s11
	v_cndmask_b32_e64 v28, v0, v2, s11
	;; [unrolled: 1-line block ×4, first 2 shown]
	v_cmp_eq_u32_e64 s12, 3, v25
	v_cndmask_b32_e64 v23, v23, v5, s28
	v_cndmask_b32_e64 v28, v28, v4, s28
	;; [unrolled: 1-line block ×4, first 2 shown]
	v_cmp_eq_u32_e64 s40, 4, v21
	v_cndmask_b32_e64 v23, v23, v7, s38
	v_cndmask_b32_e64 v28, v28, v6, s38
	;; [unrolled: 1-line block ×3, first 2 shown]
	v_cmp_eq_u32_e64 s13, 4, v25
	v_cndmask_b32_e64 v30, v30, v6, s12
	v_cndmask_b32_e64 v23, v23, v9, s40
	v_cmp_eq_u32_e64 s42, 5, v21
	v_cndmask_b32_e64 v28, v28, v8, s40
	v_cndmask_b32_e64 v29, v29, v9, s13
	;; [unrolled: 3-line block ×9, first 2 shown]
	v_cndmask_b32_e64 v28, v21, v16, s22
	v_cmp_eq_u32_e64 s9, 1, v20
	v_cndmask_b32_e64 v31, v31, v17, s8
	v_cndmask_b32_e64 v30, v30, v16, s8
	v_cmp_eq_u32_e64 s14, 1, v26
	v_add_f64 v[32:33], -v[28:29], 0
	v_cmp_eq_u32_e64 s27, 2, v20
	v_cmp_eq_u32_e64 s15, 2, v26
	v_add_f64 v[34:35], v[30:31], -v[28:29]
	v_cmp_eq_u32_e64 s35, 3, v20
	v_cmp_eq_u32_e64 s20, 3, v26
	;; [unrolled: 1-line block ×12, first 2 shown]
	v_div_scale_f64 v[36:37], null, v[34:35], v[34:35], v[32:33]
	v_rcp_f64_e32 v[38:39], v[36:37]
	v_fma_f64 v[40:41], -v[36:37], v[38:39], 1.0
	v_fma_f64 v[38:39], v[38:39], v[40:41], v[38:39]
	v_fma_f64 v[40:41], -v[36:37], v[38:39], 1.0
	v_fma_f64 v[38:39], v[38:39], v[40:41], v[38:39]
	v_div_scale_f64 v[40:41], vcc_lo, v[32:33], v[34:35], v[32:33]
	v_mul_f64 v[42:43], v[40:41], v[38:39]
	v_fma_f64 v[36:37], -v[36:37], v[42:43], v[40:41]
	v_div_fmas_f64 v[36:37], v[36:37], v[38:39], v[42:43]
	v_cndmask_b32_e64 v38, v84, v82, s16
	v_cndmask_b32_e64 v38, v38, v80, s17
	;; [unrolled: 1-line block ×3, first 2 shown]
	v_div_fixup_f64 v[32:33], v[36:37], v[34:35], v[32:33]
	v_cndmask_b32_e64 v34, v84, v82, s11
	v_cndmask_b32_e64 v37, v85, v83, s16
	;; [unrolled: 1-line block ×9, first 2 shown]
	v_add_f64 v[34:35], -v[32:33], 1.0
	v_cndmask_b32_e64 v36, v36, v126, s18
	v_cndmask_b32_e64 v36, v36, v125, s19
	;; [unrolled: 1-line block ×3, first 2 shown]
	s_waitcnt vmcnt(0)
	v_lshl_add_u32 v21, v22, 2, 0
	v_mul_f64 v[28:29], v[28:29], v[34:35]
	v_cmp_eq_u32_e64 s33, 1, v22
	v_cmp_eq_u32_e64 s34, 0, v22
	;; [unrolled: 1-line block ×3, first 2 shown]
	buffer_load_dword v23, v21, s[0:3], 0 offen offset:40
	v_cndmask_b32_e64 v21, v85, v83, s11
	v_cmp_eq_u32_e64 s45, 7, v22
	v_cmp_eq_u32_e64 s46, 6, v22
	;; [unrolled: 1-line block ×4, first 2 shown]
	v_cndmask_b32_e64 v21, v21, v81, s28
	v_cmp_eq_u32_e64 s30, 3, v22
	v_cmp_eq_u32_e64 s31, 2, v22
	v_cndmask_b32_e64 v21, v21, v93, s38
	v_cndmask_b32_e64 v21, v21, v95, s40
	;; [unrolled: 1-line block ×8, first 2 shown]
	v_mul_f64 v[36:37], v[36:37], v[34:35]
	v_cndmask_b32_e64 v21, v21, v127, s10
	v_cndmask_b32_e64 v38, v38, v114, s6
	;; [unrolled: 1-line block ×7, first 2 shown]
	v_fma_f64 v[36:37], v[38:39], v[32:33], v[36:37]
	v_fma_f64 v[38:39], v[30:31], v[32:33], v[28:29]
	v_cndmask_b32_e64 v136, v124, v36, s44
	v_cndmask_b32_e64 v2, v2, v38, s33
	;; [unrolled: 1-line block ×68, first 2 shown]
	v_add_f64 v[42:43], -v[38:39], 0
	v_cndmask_b32_e64 v84, v114, v37, s46
	v_add_f64 v[44:45], v[40:41], -v[38:39]
	v_cndmask_b32_e64 v20, v20, v87, s28
	v_cndmask_b32_e64 v31, v31, v102, s38
	;; [unrolled: 1-line block ×12, first 2 shown]
	v_div_scale_f64 v[46:47], null, v[44:45], v[44:45], v[42:43]
	v_cndmask_b32_e64 v31, v31, v122, s19
	v_cndmask_b32_e64 v20, v20, v119, s19
	;; [unrolled: 1-line block ×7, first 2 shown]
	v_mul_f64 v[126:127], v[126:127], v[34:35]
	v_cndmask_b32_e64 v31, v31, v121, s6
	v_rcp_f64_e32 v[48:49], v[46:47]
	v_cndmask_b32_e64 v31, v31, v122, s7
	v_fma_f64 v[110:111], -v[46:47], v[48:49], 1.0
	v_fma_f64 v[48:49], v[48:49], v[110:111], v[48:49]
	v_fma_f64 v[110:111], -v[46:47], v[48:49], 1.0
	v_fma_f64 v[48:49], v[48:49], v[110:111], v[48:49]
	v_div_scale_f64 v[110:111], vcc_lo, v[42:43], v[44:45], v[42:43]
	v_mul_f64 v[124:125], v[110:111], v[48:49]
	s_waitcnt vmcnt(0)
	v_lshl_add_u32 v36, v23, 2, 0
	buffer_load_dword v140, v36, s[0:3], 0 offen offset:40
	v_cndmask_b32_e64 v36, v91, v89, s16
	v_cndmask_b32_e64 v36, v36, v87, s17
	v_fma_f64 v[46:47], -v[46:47], v[124:125], v[110:111]
	v_cndmask_b32_e64 v110, v31, v123, s8
	v_cndmask_b32_e64 v36, v36, v103, s12
	;; [unrolled: 1-line block ×6, first 2 shown]
	v_cmp_eq_u32_e64 s11, 3, v23
	v_cndmask_b32_e64 v20, v20, v118, s10
	v_cndmask_b32_e64 v36, v36, v96, s28
	;; [unrolled: 1-line block ×6, first 2 shown]
	v_div_fmas_f64 v[46:47], v[46:47], v[48:49], v[124:125]
	v_cndmask_b32_e64 v20, v20, v119, s7
	v_cndmask_b32_e64 v48, v36, v108, s40
	;; [unrolled: 1-line block ×7, first 2 shown]
	v_cmp_eq_u32_e32 vcc_lo, 8, v23
	v_cmp_eq_u32_e64 s16, 0, v23
	v_cndmask_b32_e64 v31, v31, v129, s18
	v_fma_f64 v[110:111], v[110:111], v[32:33], v[126:127]
	v_cndmask_b32_e64 v20, v20, v97, s17
	v_cndmask_b32_e64 v31, v31, v131, s19
	;; [unrolled: 1-line block ×3, first 2 shown]
	v_div_fixup_f64 v[36:37], v[46:47], v[44:45], v[42:43]
	v_cndmask_b32_e64 v20, v20, v109, s13
	v_cndmask_b32_e64 v42, v48, v135, s42
	;; [unrolled: 1-line block ×23, first 2 shown]
	v_mul_f64 v[34:35], v[42:43], v[34:35]
	v_add_f64 v[45:46], -v[36:37], 1.0
	v_cndmask_b32_e64 v31, v31, v139, s37
	v_cndmask_b32_e64 v20, v20, v92, s37
	;; [unrolled: 1-line block ×20, first 2 shown]
	v_fma_f64 v[31:32], v[43:44], v[32:33], v[34:35]
	v_mul_f64 v[33:34], v[47:48], v[45:46]
	v_cndmask_b32_e64 v20, v20, v92, s21
	v_cndmask_b32_e64 v35, v42, v139, s21
	;; [unrolled: 1-line block ×7, first 2 shown]
	v_cmp_eq_u32_e64 s8, 5, v23
	v_cmp_eq_u32_e64 s12, 2, v23
	v_cndmask_b32_e64 v47, v86, v110, s31
	v_cndmask_b32_e64 v20, v20, v82, s25
	;; [unrolled: 1-line block ×3, first 2 shown]
	v_cmp_eq_u32_e64 s6, 7, v23
	v_cmp_eq_u32_e64 s13, 1, v23
	v_cndmask_b32_e64 v44, v102, v110, s30
	v_cndmask_b32_e64 v43, v20, v80, s26
	v_cndmask_b32_e64 v42, v35, v136, s26
	v_cndmask_b32_e64 v20, v91, v89, s14
	v_cndmask_b32_e64 v35, v103, v111, s30
	v_cndmask_b32_e64 v105, v105, v111, s29
	v_cndmask_b32_e64 v123, v123, v110, s44
	v_fma_f64 v[33:34], v[42:43], v[36:37], v[33:34]
	v_cndmask_b32_e64 v20, v20, v87, s15
	v_cndmask_b32_e64 v122, v122, v110, s45
	;; [unrolled: 1-line block ×7, first 2 shown]
	v_cmp_eq_u32_e64 s7, 6, v23
	v_cndmask_b32_e64 v102, v116, v111, s46
	v_cndmask_b32_e64 v100, v100, v31, s33
	;; [unrolled: 1-line block ×8, first 2 shown]
	v_mul_f64 v[38:39], v[38:39], v[45:46]
	v_cndmask_b32_e64 v97, v97, v32, s31
	v_cmp_eq_u32_e64 s10, 4, v23
	v_cndmask_b32_e64 v106, v106, v31, s30
	v_cndmask_b32_e64 v107, v107, v32, s30
	v_cndmask_b32_e32 v112, v80, v34, vcc_lo
	v_cndmask_b32_e64 v115, v92, v34, s8
	v_cndmask_b32_e64 v92, v29, v33, s11
	;; [unrolled: 1-line block ×12, first 2 shown]
	v_cndmask_b32_e32 v124, v136, v33, vcc_lo
	v_cndmask_b32_e64 v28, v28, v35, s35
	v_cndmask_b32_e64 v29, v29, v44, s35
	;; [unrolled: 1-line block ×48, first 2 shown]
	v_fma_f64 v[31:32], v[40:41], v[36:37], v[38:39]
	v_cndmask_b32_e64 v33, v99, v101, s14
	v_cndmask_b32_e64 v38, v98, v100, s14
	v_mul_f64 v[20:21], v[20:21], v[45:46]
	v_cndmask_b32_e64 v29, v29, v120, s21
	v_cndmask_b32_e64 v28, v28, v129, s39
	;; [unrolled: 1-line block ×17, first 2 shown]
	v_mul_f64 v[28:29], v[28:29], v[45:46]
	v_cndmask_b32_e64 v30, v30, v128, s21
	v_cndmask_b32_e64 v38, v38, v135, s21
	v_cndmask_b32_e32 v17, v17, v32, vcc_lo
	v_fma_f64 v[20:21], v[33:34], v[36:37], v[20:21]
	v_cndmask_b32_e32 v16, v16, v31, vcc_lo
	v_cndmask_b32_e64 v30, v30, v129, s24
	v_cndmask_b32_e64 v33, v38, v111, s24
	;; [unrolled: 1-line block ×16, first 2 shown]
	v_fma_f64 v[28:29], v[33:34], v[36:37], v[28:29]
	v_cndmask_b32_e64 v5, v5, v32, s12
	v_cndmask_b32_e64 v4, v4, v31, s12
	;; [unrolled: 1-line block ×6, first 2 shown]
	v_cndmask_b32_e32 v117, v86, v21, vcc_lo
	v_cndmask_b32_e32 v123, v123, v20, vcc_lo
	v_cndmask_b32_e64 v119, v88, v21, s6
	v_cndmask_b32_e64 v122, v122, v20, s6
	;; [unrolled: 1-line block ×16, first 2 shown]
	v_cndmask_b32_e32 v130, v130, v29, vcc_lo
	v_cndmask_b32_e32 v133, v42, v28, vcc_lo
	v_cndmask_b32_e64 v131, v131, v29, s6
	v_cndmask_b32_e64 v132, v43, v28, s6
	;; [unrolled: 1-line block ×16, first 2 shown]
	s_waitcnt vmcnt(0)
	buffer_store_dword v140, off, s[0:3], 0 offset:84
.LBB2_43:
	s_or_b32 exec_lo, exec_lo, s52
	buffer_store_dword v27, off, s[0:3], 0 offset:80
	s_and_saveexec_b32 s6, s4
	s_cbranch_execz .LBB2_52
; %bb.44:
	s_mov_b32 s7, 0
	s_branch .LBB2_46
.LBB2_45:                               ;   in Loop: Header=BB2_46 Depth=1
	s_or_b32 exec_lo, exec_lo, s9
	s_waitcnt vmcnt(0)
	v_cmp_gt_i32_e32 vcc_lo, 0, v20
	v_mov_b32_e32 v24, v20
	s_or_b32 s7, vcc_lo, s7
	s_andn2_b32 exec_lo, exec_lo, s7
	s_cbranch_execz .LBB2_52
.LBB2_46:                               ; =>This Inner Loop Header: Depth=1
	v_lshl_add_u32 v21, v24, 2, 0
	v_cmp_eq_u32_e32 vcc_lo, 1, v24
	s_mov_b32 s8, 0
	s_mov_b32 s9, exec_lo
	buffer_load_dword v20, v21, s[0:3], 0 offen offset:40
	v_cndmask_b32_e32 v27, v1, v3, vcc_lo
	v_cndmask_b32_e32 v28, v0, v2, vcc_lo
	v_cmp_eq_u32_e32 vcc_lo, 2, v24
	v_cndmask_b32_e32 v27, v27, v5, vcc_lo
	v_cndmask_b32_e32 v28, v28, v4, vcc_lo
	v_cmp_eq_u32_e32 vcc_lo, 3, v24
	;; [unrolled: 3-line block ×7, first 2 shown]
	v_cndmask_b32_e32 v28, v27, v17, vcc_lo
	v_cndmask_b32_e32 v27, v29, v16, vcc_lo
	v_cmpx_ngt_f64_e32 0, v[27:28]
	s_xor_b32 s9, exec_lo, s9
	s_cbranch_execnz .LBB2_49
; %bb.47:                               ;   in Loop: Header=BB2_46 Depth=1
	s_or_saveexec_b32 s9, s9
	v_mov_b32_e32 v27, 0x50
	s_xor_b32 exec_lo, exec_lo, s9
	s_cbranch_execnz .LBB2_50
.LBB2_48:                               ;   in Loop: Header=BB2_46 Depth=1
	s_or_b32 exec_lo, exec_lo, s9
	s_and_saveexec_b32 s9, s8
	s_cbranch_execz .LBB2_45
	s_branch .LBB2_51
.LBB2_49:                               ;   in Loop: Header=BB2_46 Depth=1
	buffer_load_dword v21, off, s[0:3], 0 offset:80
	s_waitcnt vmcnt(0)
	v_cmp_eq_u32_e32 vcc_lo, -1, v21
                                        ; implicit-def: $vgpr21
	s_and_b32 s8, vcc_lo, exec_lo
	s_or_saveexec_b32 s9, s9
	v_mov_b32_e32 v27, 0x50
	s_xor_b32 exec_lo, exec_lo, s9
	s_cbranch_execz .LBB2_48
.LBB2_50:                               ;   in Loop: Header=BB2_46 Depth=1
	buffer_load_dword v28, off, s[0:3], 0 offset:84
	v_mov_b32_e32 v27, 0x54
	s_or_b32 s8, s8, exec_lo
	s_waitcnt vmcnt(0)
	buffer_store_dword v28, v21, s[0:3], 0 offen offset:40
	s_or_b32 exec_lo, exec_lo, s9
	s_and_saveexec_b32 s9, s8
	s_cbranch_execz .LBB2_45
.LBB2_51:                               ;   in Loop: Header=BB2_46 Depth=1
	buffer_store_dword v24, v27, s[0:3], 0 offen
	s_branch .LBB2_45
.LBB2_52:
	s_or_b32 exec_lo, exec_lo, s6
	s_and_saveexec_b32 s6, s5
	s_cbranch_execz .LBB2_54
; %bb.53:
	v_cmp_gt_f64_e32 vcc_lo, 0, v[18:19]
	v_lshl_add_u32 v20, v25, 2, 0
	v_lshl_add_u32 v19, v22, 2, 0
	;; [unrolled: 1-line block ×3, first 2 shown]
	s_and_b32 s4, s4, vcc_lo
	s_or_b32 s4, s51, s4
	v_cndmask_b32_e64 v21, v26, -1, s4
	buffer_store_dword v22, v20, s[0:3], 0 offen offset:40
	buffer_store_dword v23, v19, s[0:3], 0 offen offset:40
	buffer_store_dword v21, v18, s[0:3], 0 offen offset:40
.LBB2_54:
	s_or_b32 exec_lo, exec_lo, s6
	buffer_load_dword v24, off, s[0:3], 0 offset:80
	v_mov_b32_e32 v25, -1
	v_mov_b32_e32 v26, -1
	v_mov_b32_e32 v20, -1
	v_mov_b32_e32 v21, -1
	s_mov_b32 s51, 0
	v_mov_b32_e32 v21, -1
	v_mov_b32_e32 v22, -1
	s_waitcnt vmcnt(0)
	v_cmp_eq_u32_e32 vcc_lo, 1, v24
	v_cmp_eq_u32_e64 s4, 7, v24
	v_cndmask_b32_e32 v18, v91, v89, vcc_lo
	v_cndmask_b32_e32 v19, v90, v88, vcc_lo
	v_cmp_eq_u32_e32 vcc_lo, 2, v24
	v_cndmask_b32_e32 v18, v18, v87, vcc_lo
	v_cndmask_b32_e32 v19, v19, v86, vcc_lo
	v_cmp_eq_u32_e32 vcc_lo, 3, v24
	;; [unrolled: 3-line block ×6, first 2 shown]
	v_cndmask_b32_e64 v18, v18, v119, s4
	v_cndmask_b32_e64 v23, v19, v122, s4
	v_cmp_lt_i32_e64 s4, -1, v24
	v_cndmask_b32_e32 v19, v18, v117, vcc_lo
	v_cndmask_b32_e32 v18, v23, v123, vcc_lo
	s_and_saveexec_b32 s9, s4
	s_cbranch_execz .LBB2_58
; %bb.55:
	v_mov_b32_e32 v23, v19
	v_mov_b32_e32 v25, -1
	v_mov_b32_e32 v27, v24
	v_mov_b32_e32 v20, -1
	v_mov_b32_e32 v21, -1
	v_mov_b32_e32 v26, -1
	v_mov_b32_e32 v22, v18
	s_mov_b32 s10, 0
                                        ; implicit-def: $sgpr11
.LBB2_56:                               ; =>This Inner Loop Header: Depth=1
	v_lshl_add_u32 v28, v27, 2, 0
	v_cmp_gt_f64_e64 s7, 0, v[22:23]
	buffer_load_dword v30, v28, s[0:3], 0 offen offset:40
	s_waitcnt vmcnt(0)
	v_cmp_gt_i32_e32 vcc_lo, 0, v30
	v_cndmask_b32_e32 v31, v30, v24, vcc_lo
	v_cmp_eq_u32_e64 s5, 1, v31
	v_cndmask_b32_e64 v28, v91, v89, s5
	v_cndmask_b32_e64 v29, v90, v88, s5
	v_cmp_eq_u32_e64 s5, 2, v31
	v_cndmask_b32_e64 v28, v28, v87, s5
	v_cndmask_b32_e64 v29, v29, v86, s5
	v_cmp_eq_u32_e64 s5, 3, v31
	v_cndmask_b32_e64 v28, v28, v103, s5
	v_cndmask_b32_e64 v29, v29, v102, s5
	v_cmp_eq_u32_e64 s5, 4, v31
	v_cndmask_b32_e64 v28, v28, v105, s5
	v_cndmask_b32_e64 v29, v29, v104, s5
	v_cmp_eq_u32_e64 s5, 5, v31
	v_cndmask_b32_e64 v28, v28, v118, s5
	v_cndmask_b32_e64 v29, v29, v120, s5
	v_cmp_eq_u32_e64 s5, 6, v31
	v_cndmask_b32_e64 v28, v28, v116, s5
	v_cndmask_b32_e64 v29, v29, v121, s5
	v_cmp_eq_u32_e64 s5, 7, v31
	v_cndmask_b32_e64 v28, v28, v119, s5
	v_cndmask_b32_e64 v32, v29, v122, s5
	v_cmp_eq_u32_e64 s5, 8, v31
	v_cndmask_b32_e64 v29, v28, v117, s5
	v_cndmask_b32_e64 v28, v32, v123, s5
	v_cmp_le_f64_e64 s5, 0, v[22:23]
	v_cmp_gt_f64_e64 s6, 0, v[28:29]
	v_cmp_le_f64_e64 s8, 0, v[28:29]
	v_mov_b32_e32 v22, v28
	v_mov_b32_e32 v23, v29
	s_and_b32 s5, s5, s6
	s_and_b32 s6, s7, s8
	v_cndmask_b32_e64 v21, v21, v31, s5
	v_cndmask_b32_e64 v26, v26, v31, s6
	s_or_b32 s10, vcc_lo, s10
	v_cndmask_b32_e64 v25, v25, v27, s5
	v_cndmask_b32_e64 v20, v20, v27, s6
	v_mov_b32_e32 v27, v30
	s_andn2_b32 s5, s11, exec_lo
	s_and_b32 s6, s7, exec_lo
	s_or_b32 s11, s5, s6
	s_andn2_b32 exec_lo, exec_lo, s10
	s_cbranch_execnz .LBB2_56
; %bb.57:
	s_or_b32 exec_lo, exec_lo, s10
	s_and_b32 s51, s11, exec_lo
.LBB2_58:
	s_or_b32 exec_lo, exec_lo, s9
	v_mov_b32_e32 v27, -1
	v_cmp_lt_i32_e64 s5, -1, v25
	v_mov_b32_e32 v22, -1
	v_mov_b32_e32 v23, -1
	s_and_saveexec_b32 s52, s5
	s_cbranch_execz .LBB2_60
; %bb.59:
	buffer_load_dword v22, off, s[0:3], 0 offset:84
	v_cmp_eq_u32_e64 s15, 1, v21
	v_cmp_eq_u32_e64 s16, 1, v25
	;; [unrolled: 1-line block ×5, first 2 shown]
	v_cndmask_b32_e64 v23, v91, v89, s15
	v_cndmask_b32_e64 v28, v91, v89, s16
	;; [unrolled: 1-line block ×4, first 2 shown]
	v_cmp_eq_u32_e64 s9, 3, v25
	v_cndmask_b32_e64 v23, v23, v87, s27
	v_cndmask_b32_e64 v28, v28, v87, s17
	;; [unrolled: 1-line block ×4, first 2 shown]
	v_cmp_eq_u32_e64 s36, 4, v21
	v_cndmask_b32_e64 v23, v23, v103, s35
	v_cndmask_b32_e64 v28, v28, v103, s9
	;; [unrolled: 1-line block ×3, first 2 shown]
	v_cmp_eq_u32_e64 s10, 4, v25
	v_cndmask_b32_e64 v30, v30, v102, s9
	v_cndmask_b32_e64 v23, v23, v105, s36
	v_cmp_eq_u32_e64 s37, 5, v21
	v_cndmask_b32_e64 v29, v29, v104, s36
	v_cndmask_b32_e64 v28, v28, v105, s10
	;; [unrolled: 3-line block ×5, first 2 shown]
	v_cmp_eq_u32_e64 s6, 7, v25
	v_cmp_eq_u32_e64 s26, 7, v21
	v_cndmask_b32_e64 v28, v28, v116, s12
	v_cndmask_b32_e64 v29, v29, v121, s38
	;; [unrolled: 1-line block ×3, first 2 shown]
	v_cmp_eq_u32_e64 s24, 8, v21
	v_cndmask_b32_e64 v23, v23, v119, s26
	v_cndmask_b32_e64 v21, v28, v119, s6
	v_cmp_eq_u32_e64 s7, 8, v25
	v_cndmask_b32_e64 v28, v29, v122, s26
	v_cndmask_b32_e64 v30, v30, v122, s6
	;; [unrolled: 1-line block ×3, first 2 shown]
	v_cmp_eq_u32_e64 s8, 1, v20
	v_cndmask_b32_e64 v31, v21, v117, s7
	v_cndmask_b32_e64 v28, v28, v123, s24
	;; [unrolled: 1-line block ×3, first 2 shown]
	v_cmp_eq_u32_e64 s14, 1, v26
	v_cmp_eq_u32_e64 s25, 2, v20
	;; [unrolled: 1-line block ×3, first 2 shown]
	v_add_f64 v[32:33], -v[28:29], 0
	v_add_f64 v[34:35], v[30:31], -v[28:29]
	v_cmp_eq_u32_e64 s28, 3, v20
	v_cmp_eq_u32_e64 s18, 3, v26
	;; [unrolled: 1-line block ×12, first 2 shown]
	v_div_scale_f64 v[36:37], null, v[34:35], v[34:35], v[32:33]
	v_div_scale_f64 v[42:43], vcc_lo, v[32:33], v[34:35], v[32:33]
	v_rcp_f64_e32 v[38:39], v[36:37]
	v_fma_f64 v[40:41], -v[36:37], v[38:39], 1.0
	v_fma_f64 v[38:39], v[38:39], v[40:41], v[38:39]
	v_fma_f64 v[40:41], -v[36:37], v[38:39], 1.0
	v_fma_f64 v[38:39], v[38:39], v[40:41], v[38:39]
	v_mul_f64 v[40:41], v[42:43], v[38:39]
	v_fma_f64 v[36:37], -v[36:37], v[40:41], v[42:43]
	v_div_fmas_f64 v[36:37], v[36:37], v[38:39], v[40:41]
	v_div_fixup_f64 v[110:111], v[36:37], v[34:35], v[32:33]
	v_cndmask_b32_e64 v32, v84, v82, s15
	v_cndmask_b32_e64 v33, v85, v83, s16
	;; [unrolled: 1-line block ×12, first 2 shown]
	v_add_f64 v[136:137], -v[110:111], 1.0
	v_cndmask_b32_e64 v32, v32, v126, s38
	v_cndmask_b32_e64 v32, v32, v125, s26
	;; [unrolled: 1-line block ×3, first 2 shown]
	v_mul_f64 v[28:29], v[28:29], v[136:137]
	s_waitcnt vmcnt(0)
	v_lshl_add_u32 v21, v22, 2, 0
	v_cmp_eq_u32_e64 s44, 1, v22
	v_cmp_eq_u32_e64 s40, 0, v22
	;; [unrolled: 1-line block ×4, first 2 shown]
	buffer_load_dword v23, v21, s[0:3], 0 offen offset:40
	v_cndmask_b32_e64 v21, v85, v83, s15
	v_cmp_eq_u32_e64 s47, 6, v22
	v_cmp_eq_u32_e64 s39, 5, v22
	;; [unrolled: 1-line block ×4, first 2 shown]
	v_cndmask_b32_e64 v21, v21, v81, s27
	v_cmp_eq_u32_e64 s42, 2, v22
	v_cndmask_b32_e64 v21, v21, v93, s35
	v_fma_f64 v[138:139], v[30:31], v[110:111], v[28:29]
	v_cndmask_b32_e64 v21, v21, v95, s36
	v_cndmask_b32_e64 v21, v21, v115, s37
	;; [unrolled: 1-line block ×9, first 2 shown]
	v_mul_f64 v[32:33], v[32:33], v[136:137]
	v_cndmask_b32_e64 v21, v21, v127, s11
	v_cndmask_b32_e64 v34, v34, v114, s12
	;; [unrolled: 1-line block ×18, first 2 shown]
	v_fma_f64 v[48:49], v[34:35], v[110:111], v[32:33]
	v_cndmask_b32_e64 v86, v21, v28, s14
	v_cndmask_b32_e64 v32, v120, v138, s39
	;; [unrolled: 1-line block ×52, first 2 shown]
	v_add_f64 v[90:91], -v[86:87], 0
	v_cndmask_b32_e64 v84, v1, v3, s16
	v_add_f64 v[102:103], v[88:89], -v[86:87]
	v_cndmask_b32_e64 v20, v20, v5, s27
	v_cndmask_b32_e64 v80, v80, v4, s27
	;; [unrolled: 1-line block ×12, first 2 shown]
	v_div_scale_f64 v[104:105], null, v[102:103], v[102:103], v[90:91]
	v_cndmask_b32_e64 v80, v80, v12, s38
	v_cndmask_b32_e64 v20, v20, v15, s26
	;; [unrolled: 1-line block ×7, first 2 shown]
	v_mul_f64 v[120:121], v[120:121], v[136:137]
	v_cndmask_b32_e64 v80, v80, v13, s12
	v_rcp_f64_e32 v[116:117], v[104:105]
	v_cndmask_b32_e64 v80, v80, v15, s6
	v_cndmask_b32_e64 v125, v80, v17, s7
	;; [unrolled: 1-line block ×3, first 2 shown]
	v_fma_f64 v[118:119], -v[104:105], v[116:117], 1.0
	v_fma_f64 v[116:117], v[116:117], v[118:119], v[116:117]
	v_fma_f64 v[118:119], -v[104:105], v[116:117], 1.0
	v_fma_f64 v[116:117], v[116:117], v[118:119], v[116:117]
	v_div_scale_f64 v[118:119], vcc_lo, v[90:91], v[102:103], v[90:91]
	v_mul_f64 v[122:123], v[118:119], v[116:117]
	v_fma_f64 v[104:105], -v[104:105], v[122:123], v[118:119]
	s_waitcnt vmcnt(0)
	v_lshl_add_u32 v82, v23, 2, 0
	buffer_load_dword v138, v82, s[0:3], 0 offen offset:40
	v_cndmask_b32_e64 v82, v0, v2, s16
	v_cndmask_b32_e64 v82, v82, v4, s17
	v_cndmask_b32_e64 v82, v82, v6, s9
	v_cndmask_b32_e64 v20, v82, v8, s10
	v_cndmask_b32_e64 v82, v99, v101, s15
	v_cndmask_b32_e64 v20, v20, v10, s11
	v_cndmask_b32_e64 v82, v82, v97, s27
	v_cndmask_b32_e64 v20, v20, v12, s12
	v_cndmask_b32_e64 v82, v82, v107, s35
	v_cndmask_b32_e64 v20, v20, v14, s6
	v_cndmask_b32_e64 v82, v82, v109, s36
	v_cndmask_b32_e64 v124, v20, v16, s7
	v_cndmask_b32_e64 v20, v112, v49, s45
	v_cndmask_b32_e64 v112, v98, v100, s15
	v_cndmask_b32_e64 v82, v82, v128, s37
	v_fma_f64 v[118:119], v[124:125], v[110:111], v[120:121]
	v_cndmask_b32_e64 v120, v81, v49, s42
	v_cndmask_b32_e64 v121, v83, v49, s44
	;; [unrolled: 1-line block ×3, first 2 shown]
	v_div_fmas_f64 v[80:81], v[104:105], v[116:117], v[122:123]
	v_cndmask_b32_e64 v104, v112, v96, s27
	v_cndmask_b32_e64 v49, v85, v49, s40
	;; [unrolled: 1-line block ×11, first 2 shown]
	v_cmp_eq_u32_e32 vcc_lo, 8, v23
	v_cndmask_b32_e64 v105, v105, v120, s13
	v_cndmask_b32_e64 v83, v83, v128, s11
	v_cndmask_b32_e64 v112, v112, v47, s18
	v_cndmask_b32_e64 v85, v85, v135, s37
	v_cndmask_b32_e64 v105, v105, v93, s18
	v_cndmask_b32_e64 v83, v83, v129, s12
	v_cndmask_b32_e64 v116, v3, v119, s44
	v_cndmask_b32_e64 v85, v85, v134, s38
	v_div_fixup_f64 v[90:91], v[80:81], v[102:103], v[90:91]
	v_cndmask_b32_e64 v80, v104, v96, s17
	v_cndmask_b32_e64 v81, v82, v131, s26
	;; [unrolled: 1-line block ×14, first 2 shown]
	v_mul_f64 v[80:81], v[80:81], v[136:137]
	v_cndmask_b32_e64 v85, v85, v135, s11
	v_cndmask_b32_e64 v83, v83, v131, s6
	;; [unrolled: 1-line block ×6, first 2 shown]
	v_add_f64 v[102:103], -v[90:91], 1.0
	v_cndmask_b32_e64 v4, v4, v115, s30
	v_cndmask_b32_e64 v82, v82, v127, s30
	;; [unrolled: 1-line block ×14, first 2 shown]
	v_fma_f64 v[80:81], v[82:83], v[110:111], v[80:81]
	v_cndmask_b32_e64 v83, v4, v20, s34
	v_cndmask_b32_e64 v82, v85, v140, s34
	;; [unrolled: 1-line block ×6, first 2 shown]
	v_mul_f64 v[82:83], v[82:83], v[102:103]
	v_cndmask_b32_e64 v0, v4, v115, s19
	v_cndmask_b32_e64 v2, v85, v127, s19
	;; [unrolled: 1-line block ×21, first 2 shown]
	v_fma_f64 v[0:1], v[0:1], v[90:91], v[82:83]
	v_cndmask_b32_e64 v2, v2, v111, s25
	v_cndmask_b32_e64 v3, v3, v10, s30
	;; [unrolled: 1-line block ×21, first 2 shown]
	v_cndmask_b32_e32 v112, v20, v1, vcc_lo
	v_cndmask_b32_e64 v20, v3, v14, s33
	v_cndmask_b32_e64 v4, v4, v13, s21
	;; [unrolled: 1-line block ×14, first 2 shown]
	v_mul_f64 v[2:3], v[2:3], v[102:103]
	v_cndmask_b32_e64 v131, v131, v81, s46
	v_cndmask_b32_e64 v129, v129, v81, s47
	;; [unrolled: 1-line block ×6, first 2 shown]
	v_cmp_eq_u32_e64 s7, 6, v23
	v_cmp_eq_u32_e64 s11, 3, v23
	v_cndmask_b32_e64 v4, v4, v15, s22
	v_cndmask_b32_e64 v20, v5, v14, s22
	;; [unrolled: 1-line block ×10, first 2 shown]
	v_cmp_eq_u32_e64 s12, 1, v23
	v_cmp_eq_u32_e64 s6, 7, v23
	;; [unrolled: 1-line block ×3, first 2 shown]
	v_cndmask_b32_e64 v20, v20, v107, s28
	v_cndmask_b32_e64 v47, v47, v106, s28
	v_fma_f64 v[96:97], v[4:5], v[90:91], v[2:3]
	v_cmp_eq_u32_e64 s10, 4, v23
	v_cmp_eq_u32_e64 s8, 2, v23
	v_cndmask_b32_e64 v4, v20, v109, s29
	v_cndmask_b32_e64 v5, v47, v108, s29
	;; [unrolled: 1-line block ×7, first 2 shown]
	v_cmp_eq_u32_e64 s14, 0, v23
	v_cndmask_b32_e64 v113, v84, v1, s6
	v_cndmask_b32_e64 v115, v115, v1, s9
	;; [unrolled: 1-line block ×6, first 2 shown]
	v_mul_f64 v[2:3], v[86:87], v[102:103]
	v_cndmask_b32_e64 v85, v49, v1, s14
	v_cndmask_b32_e64 v1, v4, v129, s31
	;; [unrolled: 1-line block ×5, first 2 shown]
	v_cndmask_b32_e32 v124, v140, v0, vcc_lo
	v_cndmask_b32_e64 v125, v141, v0, s6
	v_cndmask_b32_e64 v126, v126, v0, s7
	;; [unrolled: 1-line block ×10, first 2 shown]
	v_cndmask_b32_e32 v17, v17, v97, vcc_lo
	v_cndmask_b32_e64 v1, v0, v130, s34
	v_cndmask_b32_e64 v0, v4, v133, s34
	;; [unrolled: 1-line block ×4, first 2 shown]
	v_fma_f64 v[44:45], v[88:89], v[90:91], v[2:3]
	v_cndmask_b32_e32 v16, v16, v96, vcc_lo
	v_mul_f64 v[0:1], v[0:1], v[102:103]
	v_cndmask_b32_e64 v4, v4, v128, s19
	v_cndmask_b32_e64 v5, v5, v135, s19
	;; [unrolled: 1-line block ×21, first 2 shown]
	v_fma_f64 v[46:47], v[46:47], v[90:91], v[0:1]
	v_cndmask_b32_e64 v2, v105, v96, s12
	v_cndmask_b32_e64 v1, v117, v97, s14
	;; [unrolled: 1-line block ×3, first 2 shown]
	v_cndmask_b32_e32 v117, v43, v45, vcc_lo
	v_cndmask_b32_e32 v123, v35, v44, vcc_lo
	v_cndmask_b32_e64 v119, v41, v45, s6
	v_cndmask_b32_e64 v122, v34, v44, s6
	;; [unrolled: 1-line block ×16, first 2 shown]
	v_cndmask_b32_e32 v130, v130, v47, vcc_lo
	v_cndmask_b32_e32 v133, v133, v46, vcc_lo
	v_cndmask_b32_e64 v131, v131, v47, s6
	v_cndmask_b32_e64 v132, v132, v46, s6
	;; [unrolled: 1-line block ×16, first 2 shown]
	s_waitcnt vmcnt(0)
	buffer_store_dword v138, off, s[0:3], 0 offset:84
.LBB2_60:
	s_or_b32 exec_lo, exec_lo, s52
	buffer_store_dword v27, off, s[0:3], 0 offset:80
	s_and_saveexec_b32 s6, s4
	s_cbranch_execz .LBB2_69
; %bb.61:
	s_mov_b32 s7, 0
	s_branch .LBB2_63
.LBB2_62:                               ;   in Loop: Header=BB2_63 Depth=1
	s_or_b32 exec_lo, exec_lo, s9
	s_waitcnt vmcnt(0)
	v_cmp_gt_i32_e32 vcc_lo, 0, v20
	v_mov_b32_e32 v24, v20
	s_or_b32 s7, vcc_lo, s7
	s_andn2_b32 exec_lo, exec_lo, s7
	s_cbranch_execz .LBB2_69
.LBB2_63:                               ; =>This Inner Loop Header: Depth=1
	v_lshl_add_u32 v21, v24, 2, 0
	v_cmp_eq_u32_e32 vcc_lo, 1, v24
	s_mov_b32 s8, 0
	s_mov_b32 s9, exec_lo
	buffer_load_dword v20, v21, s[0:3], 0 offen offset:40
	v_cndmask_b32_e32 v27, v91, v89, vcc_lo
	v_cndmask_b32_e32 v28, v90, v88, vcc_lo
	v_cmp_eq_u32_e32 vcc_lo, 2, v24
	v_cndmask_b32_e32 v27, v27, v87, vcc_lo
	v_cndmask_b32_e32 v28, v28, v86, vcc_lo
	v_cmp_eq_u32_e32 vcc_lo, 3, v24
	;; [unrolled: 3-line block ×7, first 2 shown]
	v_cndmask_b32_e32 v28, v27, v117, vcc_lo
	v_cndmask_b32_e32 v27, v29, v123, vcc_lo
	v_cmpx_ngt_f64_e32 0, v[27:28]
	s_xor_b32 s9, exec_lo, s9
	s_cbranch_execnz .LBB2_66
; %bb.64:                               ;   in Loop: Header=BB2_63 Depth=1
	s_or_saveexec_b32 s9, s9
	v_mov_b32_e32 v27, 0x50
	s_xor_b32 exec_lo, exec_lo, s9
	s_cbranch_execnz .LBB2_67
.LBB2_65:                               ;   in Loop: Header=BB2_63 Depth=1
	s_or_b32 exec_lo, exec_lo, s9
	s_and_saveexec_b32 s9, s8
	s_cbranch_execz .LBB2_62
	s_branch .LBB2_68
.LBB2_66:                               ;   in Loop: Header=BB2_63 Depth=1
	buffer_load_dword v21, off, s[0:3], 0 offset:80
	s_waitcnt vmcnt(0)
	v_cmp_eq_u32_e32 vcc_lo, -1, v21
                                        ; implicit-def: $vgpr21
	s_and_b32 s8, vcc_lo, exec_lo
	s_or_saveexec_b32 s9, s9
	v_mov_b32_e32 v27, 0x50
	s_xor_b32 exec_lo, exec_lo, s9
	s_cbranch_execz .LBB2_65
.LBB2_67:                               ;   in Loop: Header=BB2_63 Depth=1
	buffer_load_dword v28, off, s[0:3], 0 offset:84
	v_mov_b32_e32 v27, 0x54
	s_or_b32 s8, s8, exec_lo
	s_waitcnt vmcnt(0)
	buffer_store_dword v28, v21, s[0:3], 0 offen offset:40
	s_or_b32 exec_lo, exec_lo, s9
	s_and_saveexec_b32 s9, s8
	s_cbranch_execz .LBB2_62
.LBB2_68:                               ;   in Loop: Header=BB2_63 Depth=1
	buffer_store_dword v24, v27, s[0:3], 0 offen
	s_branch .LBB2_62
.LBB2_69:
	s_or_b32 exec_lo, exec_lo, s6
	s_and_saveexec_b32 s6, s5
	s_cbranch_execz .LBB2_71
; %bb.70:
	v_cmp_gt_f64_e32 vcc_lo, 0, v[18:19]
	v_lshl_add_u32 v20, v25, 2, 0
	v_lshl_add_u32 v19, v22, 2, 0
	;; [unrolled: 1-line block ×3, first 2 shown]
	s_and_b32 s4, s4, vcc_lo
	s_or_b32 s4, s51, s4
	v_cndmask_b32_e64 v21, v26, -1, s4
	buffer_store_dword v22, v20, s[0:3], 0 offen offset:40
	buffer_store_dword v23, v19, s[0:3], 0 offen offset:40
	;; [unrolled: 1-line block ×3, first 2 shown]
.LBB2_71:
	s_or_b32 exec_lo, exec_lo, s6
	s_clause 0xa
	buffer_load_dword v110, off, s[0:3], 0 offset:80
	buffer_load_dword v111, off, s[0:3], 0 offset:84
	;; [unrolled: 1-line block ×11, first 2 shown]
	v_mov_b32_e32 v24, -1
	s_mov_b32 s47, 0
	s_waitcnt vmcnt(10)
	buffer_store_dword v110, off, s[0:3], 0 offset:88
	s_waitcnt vmcnt(9)
	buffer_store_dword v111, off, s[0:3], 0 offset:92
	v_cmp_eq_u32_e32 vcc_lo, 1, v110
	v_cmp_eq_u32_e64 s4, 3, v110
	s_waitcnt vmcnt(8)
	buffer_store_dword v18, off, s[0:3], 0
	s_waitcnt vmcnt(7)
	buffer_store_dword v19, off, s[0:3], 0 offset:4
	s_waitcnt vmcnt(6)
	buffer_store_dword v23, off, s[0:3], 0 offset:8
	;; [unrolled: 2-line block ×3, first 2 shown]
	v_mov_b32_e32 v25, -1
	v_cndmask_b32_e32 v20, v99, v101, vcc_lo
	v_cndmask_b32_e32 v21, v98, v100, vcc_lo
	v_cmp_eq_u32_e32 vcc_lo, 2, v110
	s_waitcnt vmcnt(4)
	buffer_store_dword v26, off, s[0:3], 0 offset:16
	s_waitcnt vmcnt(3)
	buffer_store_dword v27, off, s[0:3], 0 offset:20
	s_waitcnt vmcnt(2)
	buffer_store_dword v28, off, s[0:3], 0 offset:24
	s_waitcnt vmcnt(1)
	buffer_store_dword v29, off, s[0:3], 0 offset:28
	s_waitcnt vmcnt(0)
	buffer_store_dword v30, off, s[0:3], 0 offset:32
	v_cndmask_b32_e32 v20, v20, v97, vcc_lo
	v_cndmask_b32_e32 v21, v21, v96, vcc_lo
	v_cmp_eq_u32_e32 vcc_lo, 4, v110
	v_cndmask_b32_e64 v31, v20, v107, s4
	v_cndmask_b32_e64 v32, v21, v106, s4
	v_mov_b32_e32 v20, -1
	v_mov_b32_e32 v21, -1
	;; [unrolled: 1-line block ×4, first 2 shown]
	v_cndmask_b32_e32 v22, v31, v109, vcc_lo
	v_cmp_eq_u32_e64 s4, 5, v110
	v_cndmask_b32_e32 v31, v32, v108, vcc_lo
	v_cmp_eq_u32_e32 vcc_lo, 6, v110
	v_cndmask_b32_e64 v22, v22, v128, s4
	v_cndmask_b32_e64 v31, v31, v135, s4
	v_cmp_eq_u32_e64 s4, 7, v110
	v_cndmask_b32_e32 v18, v22, v129, vcc_lo
	v_cndmask_b32_e32 v19, v31, v134, vcc_lo
	v_cmp_eq_u32_e32 vcc_lo, 8, v110
	v_cndmask_b32_e64 v18, v18, v131, s4
	v_cndmask_b32_e64 v22, v19, v132, s4
	v_cmp_lt_i32_e64 s4, -1, v110
	v_cndmask_b32_e32 v19, v18, v130, vcc_lo
	v_cndmask_b32_e32 v18, v22, v133, vcc_lo
	s_and_saveexec_b32 s9, s4
	s_cbranch_execz .LBB2_75
; %bb.72:
	v_mov_b32_e32 v23, v19
	v_mov_b32_e32 v24, -1
	v_mov_b32_e32 v26, v110
	v_mov_b32_e32 v20, -1
	v_mov_b32_e32 v21, -1
	;; [unrolled: 1-line block ×3, first 2 shown]
	v_mov_b32_e32 v22, v18
	s_mov_b32 s10, 0
                                        ; implicit-def: $sgpr11
.LBB2_73:                               ; =>This Inner Loop Header: Depth=1
	v_lshl_add_u32 v27, v26, 2, 0
	v_cmp_gt_f64_e64 s7, 0, v[22:23]
	buffer_load_dword v29, v27, s[0:3], 0 offen offset:40
	s_waitcnt vmcnt(0)
	v_cmp_gt_i32_e32 vcc_lo, 0, v29
	v_cndmask_b32_e32 v30, v29, v110, vcc_lo
	v_cmp_eq_u32_e64 s5, 1, v30
	v_cndmask_b32_e64 v27, v99, v101, s5
	v_cndmask_b32_e64 v28, v98, v100, s5
	v_cmp_eq_u32_e64 s5, 2, v30
	v_cndmask_b32_e64 v27, v27, v97, s5
	v_cndmask_b32_e64 v28, v28, v96, s5
	;; [unrolled: 3-line block ×8, first 2 shown]
	v_cmp_le_f64_e64 s5, 0, v[22:23]
	v_cmp_gt_f64_e64 s6, 0, v[27:28]
	v_cmp_le_f64_e64 s8, 0, v[27:28]
	v_mov_b32_e32 v22, v27
	v_mov_b32_e32 v23, v28
	s_and_b32 s5, s5, s6
	s_and_b32 s6, s7, s8
	v_cndmask_b32_e64 v21, v21, v30, s5
	v_cndmask_b32_e64 v25, v25, v30, s6
	s_or_b32 s10, vcc_lo, s10
	v_cndmask_b32_e64 v24, v24, v26, s5
	v_cndmask_b32_e64 v20, v20, v26, s6
	v_mov_b32_e32 v26, v29
	s_andn2_b32 s5, s11, exec_lo
	s_and_b32 s6, s7, exec_lo
	s_or_b32 s11, s5, s6
	s_andn2_b32 exec_lo, exec_lo, s10
	s_cbranch_execnz .LBB2_73
; %bb.74:
	s_or_b32 exec_lo, exec_lo, s10
	s_and_b32 s47, s11, exec_lo
.LBB2_75:
	s_or_b32 exec_lo, exec_lo, s9
	v_mov_b32_e32 v23, -1
	v_cmp_lt_i32_e64 s5, -1, v24
	v_lshl_add_u32 v136, v111, 2, 0
	v_mov_b32_e32 v26, -1
	v_mov_b32_e32 v22, -1
	s_and_saveexec_b32 s51, s5
	s_cbranch_execz .LBB2_77
; %bb.76:
	v_cmp_eq_u32_e64 s8, 1, v21
	v_cmp_eq_u32_e64 s22, 1, v24
	;; [unrolled: 1-line block ×5, first 2 shown]
	v_cndmask_b32_e64 v22, v99, v101, s8
	v_cndmask_b32_e64 v26, v99, v101, s22
	;; [unrolled: 1-line block ×4, first 2 shown]
	v_cmp_eq_u32_e64 s23, 3, v24
	v_cndmask_b32_e64 v22, v22, v97, s13
	v_cndmask_b32_e64 v26, v26, v97, s16
	;; [unrolled: 1-line block ×4, first 2 shown]
	v_cmp_eq_u32_e64 s15, 4, v21
	v_cndmask_b32_e64 v22, v22, v107, s19
	v_cndmask_b32_e64 v26, v26, v107, s23
	;; [unrolled: 1-line block ×3, first 2 shown]
	v_cmp_eq_u32_e64 s14, 4, v24
	v_cndmask_b32_e64 v28, v28, v106, s23
	v_cndmask_b32_e64 v22, v22, v109, s15
	v_cmp_eq_u32_e64 s17, 5, v21
	v_cndmask_b32_e64 v27, v27, v108, s15
	v_cndmask_b32_e64 v26, v26, v109, s14
	v_cmp_eq_u32_e64 s9, 5, v24
	v_cndmask_b32_e64 v28, v28, v108, s14
	v_cndmask_b32_e64 v22, v22, v128, s17
	v_cmp_eq_u32_e64 s18, 6, v21
	v_cndmask_b32_e64 v27, v27, v135, s17
	v_cndmask_b32_e64 v26, v26, v128, s9
	v_cmp_eq_u32_e64 s10, 6, v24
	v_cndmask_b32_e64 v28, v28, v135, s9
	v_cndmask_b32_e64 v22, v22, v129, s18
	v_cmp_eq_u32_e64 s20, 7, v21
	v_cndmask_b32_e64 v27, v27, v134, s18
	v_cndmask_b32_e64 v26, v26, v129, s10
	v_cmp_eq_u32_e64 s12, 7, v24
	v_cndmask_b32_e64 v28, v28, v134, s10
	v_cndmask_b32_e64 v22, v22, v131, s20
	v_cmp_eq_u32_e64 s21, 8, v21
	v_cndmask_b32_e64 v21, v27, v132, s20
	v_cndmask_b32_e64 v29, v26, v131, s12
	v_cmp_eq_u32_e64 s11, 8, v24
	v_cndmask_b32_e64 v28, v28, v132, s12
	v_cndmask_b32_e64 v27, v22, v130, s21
	v_cndmask_b32_e64 v26, v21, v133, s21
	v_cmp_eq_u32_e64 s45, 1, v111
	v_cndmask_b32_e64 v29, v29, v130, s11
	v_cndmask_b32_e64 v28, v28, v133, s11
	v_cmp_eq_u32_e64 s46, 0, v111
	v_add_f64 v[30:31], -v[26:27], 0
	v_cmp_eq_u32_e64 s39, 7, v111
	v_cmp_eq_u32_e64 s40, 6, v111
	v_add_f64 v[32:33], v[28:29], -v[26:27]
	v_cmp_eq_u32_e64 s41, 5, v111
	v_cmp_eq_u32_e64 s42, 4, v111
	;; [unrolled: 1-line block ×20, first 2 shown]
	v_div_scale_f64 v[34:35], null, v[32:33], v[32:33], v[30:31]
	v_div_scale_f64 v[38:39], vcc_lo, v[30:31], v[32:33], v[30:31]
	v_rcp_f64_e32 v[21:22], v[34:35]
	v_fma_f64 v[36:37], -v[34:35], v[21:22], 1.0
	v_fma_f64 v[21:22], v[21:22], v[36:37], v[21:22]
	v_fma_f64 v[36:37], -v[34:35], v[21:22], 1.0
	v_fma_f64 v[36:37], v[21:22], v[36:37], v[21:22]
	buffer_load_dword v22, v136, s[0:3], 0 offen offset:40
	v_cndmask_b32_e64 v21, v85, v83, s8
	v_cndmask_b32_e64 v21, v21, v81, s13
	;; [unrolled: 1-line block ×4, first 2 shown]
	v_mul_f64 v[40:41], v[38:39], v[36:37]
	v_cndmask_b32_e64 v21, v21, v115, s17
	v_cndmask_b32_e64 v21, v21, v114, s18
	;; [unrolled: 1-line block ×3, first 2 shown]
	v_fma_f64 v[34:35], -v[34:35], v[40:41], v[38:39]
	v_div_fmas_f64 v[34:35], v[34:35], v[36:37], v[40:41]
	v_cmp_eq_u32_e32 vcc_lo, 8, v111
	v_div_fixup_f64 v[137:138], v[34:35], v[32:33], v[30:31]
	v_cndmask_b32_e64 v30, v84, v82, s8
	v_cndmask_b32_e64 v31, v85, v83, s22
	;; [unrolled: 1-line block ×14, first 2 shown]
	v_add_f64 v[139:140], -v[137:138], 1.0
	v_cndmask_b32_e64 v32, v33, v115, s9
	v_cndmask_b32_e64 v21, v21, v127, s9
	;; [unrolled: 1-line block ×11, first 2 shown]
	v_mul_f64 v[26:27], v[26:27], v[139:140]
	v_mul_f64 v[30:31], v[30:31], v[139:140]
	v_fma_f64 v[41:42], v[28:29], v[137:138], v[26:27]
	v_fma_f64 v[141:142], v[32:33], v[137:138], v[30:31]
	v_cndmask_b32_e64 v26, v100, v41, s45
	v_cndmask_b32_e64 v21, v98, v41, s46
	;; [unrolled: 1-line block ×7, first 2 shown]
	v_cndmask_b32_e32 v33, v133, v41, vcc_lo
	v_cndmask_b32_e64 v32, v132, v41, s39
	v_cndmask_b32_e64 v31, v134, v41, s40
	;; [unrolled: 1-line block ×6, first 2 shown]
	v_cndmask_b32_e32 v41, v130, v42, vcc_lo
	v_cndmask_b32_e64 v39, v131, v42, s39
	v_cndmask_b32_e64 v38, v129, v42, s40
	;; [unrolled: 1-line block ×10, first 2 shown]
	v_cndmask_b32_e32 v43, v124, v141, vcc_lo
	v_cndmask_b32_e64 v80, v80, v42, s31
	v_cndmask_b32_e64 v92, v92, v27, s31
	v_cndmask_b32_e64 v94, v94, v42, s34
	v_cndmask_b32_e64 v96, v96, v27, s34
	v_cndmask_b32_e64 v44, v125, v141, s39
	v_cndmask_b32_e64 v80, v80, v40, s36
	v_cndmask_b32_e64 v92, v92, v28, s36
	v_cndmask_b32_e64 v94, v94, v40, s37
	v_cndmask_b32_e64 v96, v96, v28, s37
	v_cndmask_b32_e64 v45, v126, v141, s40
	v_cndmask_b32_e64 v80, v80, v36, s33
	v_cndmask_b32_e64 v92, v92, v29, s33
	v_cndmask_b32_e64 v94, v94, v36, s35
	v_cndmask_b32_e64 v96, v96, v29, s35
	v_cndmask_b32_e64 v46, v127, v141, s41
	v_cndmask_b32_e64 v80, v80, v37, s29
	v_cndmask_b32_e64 v92, v92, v30, s29
	v_cndmask_b32_e64 v94, v94, v37, s30
	v_cndmask_b32_e64 v96, v96, v30, s30
	v_cndmask_b32_e64 v128, v0, v2, s8
	v_cndmask_b32_e64 v80, v80, v38, s26
	v_cndmask_b32_e64 v92, v92, v31, s26
	v_cndmask_b32_e64 v94, v94, v38, s24
	v_cndmask_b32_e64 v96, v96, v31, s24
	v_cndmask_b32_e64 v128, v128, v4, s13
	v_cndmask_b32_e64 v80, v80, v39, s27
	v_cndmask_b32_e64 v20, v92, v32, s27
	v_cndmask_b32_e64 v92, v94, v39, s6
	v_cndmask_b32_e64 v94, v96, v32, s6
	v_cndmask_b32_e64 v132, v90, v88, s8
	v_cndmask_b32_e64 v97, v80, v41, s28
	v_cndmask_b32_e64 v96, v20, v33, s28
	v_cndmask_b32_e64 v99, v92, v41, s7
	v_cndmask_b32_e64 v98, v94, v33, s7
	v_cndmask_b32_e64 v94, v1, v3, s8
	v_cndmask_b32_e64 v128, v128, v6, s19
	v_add_f64 v[100:101], -v[96:97], 0
	v_cndmask_b32_e64 v131, v91, v89, s8
	v_add_f64 v[106:107], v[98:99], -v[96:97]
	v_cndmask_b32_e64 v94, v94, v5, s13
	v_cndmask_b32_e64 v132, v132, v86, s13
	;; [unrolled: 1-line block ×21, first 2 shown]
	v_div_scale_f64 v[108:109], null, v[106:107], v[106:107], v[100:101]
	v_cndmask_b32_e64 v92, v92, v6, s23
	v_cndmask_b32_e64 v130, v130, v102, s23
	;; [unrolled: 1-line block ×19, first 2 shown]
	v_rcp_f64_e32 v[124:125], v[108:109]
	v_cndmask_b32_e64 v92, v92, v14, s12
	v_fma_f64 v[126:127], -v[108:109], v[124:125], 1.0
	s_waitcnt vmcnt(0)
	v_lshl_add_u32 v20, v22, 2, 0
	v_cmp_eq_u32_e64 s13, 0, v22
	buffer_load_dword v20, v20, s[0:3], 0 offen offset:40
	v_fma_f64 v[124:125], v[124:125], v[126:127], v[124:125]
	v_cndmask_b32_e64 v126, v128, v12, s18
	v_cndmask_b32_e64 v128, v132, v104, s15
	;; [unrolled: 1-line block ×11, first 2 shown]
	v_mul_f64 v[126:127], v[126:127], v[139:140]
	v_cndmask_b32_e64 v130, v128, v122, s20
	v_cndmask_b32_e64 v94, v94, v119, s20
	v_fma_f64 v[128:129], -v[108:109], v[124:125], 1.0
	v_cndmask_b32_e64 v131, v94, v117, s21
	v_cndmask_b32_e64 v94, v132, v118, s9
	;; [unrolled: 1-line block ×5, first 2 shown]
	v_cmp_eq_u32_e64 s9, 4, v22
	v_cndmask_b32_e64 v94, v94, v116, s10
	v_cndmask_b32_e64 v134, v132, v121, s10
	v_cndmask_b32_e64 v132, v92, v16, s11
	v_mul_f64 v[130:131], v[130:131], v[139:140]
	v_cmp_eq_u32_e64 s10, 3, v22
	v_cndmask_b32_e64 v80, v94, v119, s12
	v_cndmask_b32_e64 v92, v134, v122, s12
	;; [unrolled: 1-line block ×3, first 2 shown]
	v_cmp_eq_u32_e64 s12, 1, v22
	v_fma_f64 v[126:127], v[132:133], v[137:138], v[126:127]
	v_div_scale_f64 v[132:133], s8, v[100:101], v[106:107], v[100:101]
	v_fma_f64 v[124:125], v[124:125], v[128:129], v[124:125]
	v_cndmask_b32_e64 v129, v80, v117, s11
	v_cndmask_b32_e64 v128, v92, v123, s11
	v_cndmask_b32_e32 v92, v112, v142, vcc_lo
	v_cmp_eq_u32_e64 s11, 2, v22
	v_fma_f64 v[128:129], v[128:129], v[137:138], v[130:131]
	v_cndmask_b32_e64 v130, v81, v142, s44
	v_cndmask_b32_e64 v140, v0, v126, s46
	;; [unrolled: 1-line block ×3, first 2 shown]
	v_cndmask_b32_e32 v16, v16, v126, vcc_lo
	v_cndmask_b32_e32 v17, v17, v127, vcc_lo
	v_cndmask_b32_e64 v139, v2, v126, s45
	v_cndmask_b32_e64 v2, v85, v83, s38
	v_mul_f64 v[80:81], v[132:133], v[124:125]
	v_cndmask_b32_e64 v138, v4, v126, s44
	v_cndmask_b32_e64 v145, v5, v127, s44
	;; [unrolled: 1-line block ×9, first 2 shown]
	v_cndmask_b32_e32 v123, v123, v128, vcc_lo
	v_cndmask_b32_e32 v117, v117, v129, vcc_lo
	s_mov_b32 vcc_lo, s8
	v_cndmask_b32_e64 v122, v122, v128, s39
	v_cndmask_b32_e64 v121, v121, v128, s40
	;; [unrolled: 1-line block ×9, first 2 shown]
	v_fma_f64 v[0:1], -v[108:109], v[80:81], v[132:133]
	v_cndmask_b32_e64 v108, v86, v128, s44
	v_cndmask_b32_e64 v109, v90, v128, s46
	;; [unrolled: 1-line block ×21, first 2 shown]
	v_div_fmas_f64 v[0:1], v[0:1], v[124:125], v[80:81]
	v_cndmask_b32_e64 v12, v129, v89, s25
	v_cndmask_b32_e64 v13, v109, v88, s25
	;; [unrolled: 1-line block ×21, first 2 shown]
	v_div_fixup_f64 v[0:1], v[0:1], v[106:107], v[100:101]
	v_cndmask_b32_e64 v11, v11, v102, s37
	v_cndmask_b32_e64 v12, v12, v103, s36
	;; [unrolled: 1-line block ×21, first 2 shown]
	v_add_f64 v[2:3], -v[0:1], 1.0
	v_cndmask_b32_e64 v86, v5, v44, s27
	v_cndmask_b32_e64 v87, v11, v120, s30
	;; [unrolled: 1-line block ×21, first 2 shown]
	v_mul_f64 v[4:5], v[4:5], v[2:3]
	v_cndmask_b32_e64 v10, v10, v105, s35
	v_cndmask_b32_e64 v80, v80, v46, s30
	;; [unrolled: 1-line block ×8, first 2 shown]
	v_mul_f64 v[6:7], v[6:7], v[2:3]
	v_cndmask_b32_e64 v12, v87, v121, s24
	v_mul_f64 v[8:9], v[8:9], v[2:3]
	v_mul_f64 v[2:3], v[96:97], v[2:3]
	v_cndmask_b32_e64 v90, v10, v116, s24
	v_cndmask_b32_e64 v10, v13, v94, s6
	;; [unrolled: 1-line block ×4, first 2 shown]
	v_cmp_eq_u32_e32 vcc_lo, 8, v22
	v_cndmask_b32_e64 v80, v90, v119, s6
	v_cndmask_b32_e64 v11, v10, v92, s7
	;; [unrolled: 1-line block ×5, first 2 shown]
	v_cmp_eq_u32_e64 s8, 5, v22
	v_fma_f64 v[4:5], v[10:11], v[0:1], v[4:5]
	v_cndmask_b32_e64 v10, v81, v15, s6
	v_cmp_eq_u32_e64 s6, 7, v22
	v_cndmask_b32_e64 v11, v10, v17, s7
	v_cndmask_b32_e64 v10, v13, v16, s7
	v_cndmask_b32_e64 v13, v80, v117, s7
	v_fma_f64 v[98:99], v[98:99], v[0:1], v[2:3]
	v_cmp_eq_u32_e64 s7, 6, v22
	v_fma_f64 v[86:87], v[10:11], v[0:1], v[6:7]
	v_fma_f64 v[90:91], v[12:13], v[0:1], v[8:9]
	v_cndmask_b32_e32 v112, v92, v5, vcc_lo
	v_cndmask_b32_e32 v124, v43, v4, vcc_lo
	v_cndmask_b32_e64 v113, v94, v5, s6
	v_cndmask_b32_e64 v125, v44, v4, s6
	v_cndmask_b32_e64 v114, v114, v5, s7
	v_cndmask_b32_e64 v126, v45, v4, s7
	v_cndmask_b32_e64 v115, v115, v5, s8
	v_cndmask_b32_e64 v127, v46, v4, s8
	v_cndmask_b32_e64 v95, v95, v5, s9
	v_cndmask_b32_e64 v94, v47, v4, s9
	v_cndmask_b32_e64 v93, v93, v5, s10
	v_cndmask_b32_e64 v92, v48, v4, s10
	v_cndmask_b32_e64 v81, v130, v5, s11
	v_cndmask_b32_e64 v80, v49, v4, s11
	v_cndmask_b32_e64 v83, v83, v5, s12
	v_cndmask_b32_e64 v82, v82, v4, s12
	v_cndmask_b32_e64 v85, v85, v5, s13
	v_cndmask_b32_e64 v84, v84, v4, s13
	v_cndmask_b32_e32 v17, v17, v87, vcc_lo
	v_cndmask_b32_e32 v16, v16, v86, vcc_lo
	v_cndmask_b32_e64 v15, v15, v87, s6
	v_cndmask_b32_e64 v14, v14, v86, s6
	v_cndmask_b32_e64 v13, v141, v87, s7
	v_cndmask_b32_e64 v12, v131, v86, s7
	v_cndmask_b32_e64 v11, v142, v87, s8
	v_cndmask_b32_e64 v10, v134, v86, s8
	v_cndmask_b32_e64 v9, v143, v87, s9
	v_cndmask_b32_e64 v8, v135, v86, s9
	v_cndmask_b32_e64 v7, v144, v87, s10
	v_cndmask_b32_e64 v6, v137, v86, s10
	v_cndmask_b32_e64 v5, v145, v87, s11
	v_cndmask_b32_e64 v4, v138, v86, s11
	v_cndmask_b32_e64 v3, v146, v87, s12
	v_cndmask_b32_e64 v2, v139, v86, s12
	v_cndmask_b32_e64 v1, v147, v87, s13
	v_cndmask_b32_e64 v0, v140, v86, s13
	;; [unrolled: 18-line block ×4, first 2 shown]
	v_mov_b32_e32 v26, v111
	s_waitcnt vmcnt(0)
	buffer_store_dword v20, off, s[0:3], 0 offset:84
.LBB2_77:
	s_or_b32 exec_lo, exec_lo, s51
	buffer_store_dword v23, off, s[0:3], 0 offset:80
	s_and_saveexec_b32 s6, s4
	s_cbranch_execz .LBB2_86
; %bb.78:
	v_mov_b32_e32 v20, v110
	s_mov_b32 s7, 0
	s_branch .LBB2_80
.LBB2_79:                               ;   in Loop: Header=BB2_80 Depth=1
	s_or_b32 exec_lo, exec_lo, s9
	s_waitcnt vmcnt(0)
	v_cmp_gt_i32_e32 vcc_lo, 0, v21
	v_mov_b32_e32 v20, v21
	s_or_b32 s7, vcc_lo, s7
	s_andn2_b32 exec_lo, exec_lo, s7
	s_cbranch_execz .LBB2_86
.LBB2_80:                               ; =>This Inner Loop Header: Depth=1
	v_lshl_add_u32 v23, v20, 2, 0
	v_cmp_eq_u32_e32 vcc_lo, 1, v20
	s_mov_b32 s8, 0
	s_mov_b32 s9, exec_lo
	buffer_load_dword v21, v23, s[0:3], 0 offen offset:40
	v_cndmask_b32_e32 v27, v99, v101, vcc_lo
	v_cndmask_b32_e32 v28, v98, v100, vcc_lo
	v_cmp_eq_u32_e32 vcc_lo, 2, v20
	v_cndmask_b32_e32 v27, v27, v97, vcc_lo
	v_cndmask_b32_e32 v28, v28, v96, vcc_lo
	v_cmp_eq_u32_e32 vcc_lo, 3, v20
	;; [unrolled: 3-line block ×7, first 2 shown]
	v_cndmask_b32_e32 v28, v27, v130, vcc_lo
	v_cndmask_b32_e32 v27, v29, v133, vcc_lo
	v_cmpx_ngt_f64_e32 0, v[27:28]
	s_xor_b32 s9, exec_lo, s9
	s_cbranch_execnz .LBB2_83
; %bb.81:                               ;   in Loop: Header=BB2_80 Depth=1
	s_or_saveexec_b32 s9, s9
	v_mov_b32_e32 v27, 0x50
	s_xor_b32 exec_lo, exec_lo, s9
	s_cbranch_execnz .LBB2_84
.LBB2_82:                               ;   in Loop: Header=BB2_80 Depth=1
	s_or_b32 exec_lo, exec_lo, s9
	s_and_saveexec_b32 s9, s8
	s_cbranch_execz .LBB2_79
	s_branch .LBB2_85
.LBB2_83:                               ;   in Loop: Header=BB2_80 Depth=1
	buffer_load_dword v23, off, s[0:3], 0 offset:80
	s_waitcnt vmcnt(0)
	v_cmp_eq_u32_e32 vcc_lo, -1, v23
                                        ; implicit-def: $vgpr23
	s_and_b32 s8, vcc_lo, exec_lo
	s_or_saveexec_b32 s9, s9
	v_mov_b32_e32 v27, 0x50
	s_xor_b32 exec_lo, exec_lo, s9
	s_cbranch_execz .LBB2_82
.LBB2_84:                               ;   in Loop: Header=BB2_80 Depth=1
	buffer_load_dword v28, off, s[0:3], 0 offset:84
	v_mov_b32_e32 v27, 0x54
	s_or_b32 s8, s8, exec_lo
	s_waitcnt vmcnt(0)
	buffer_store_dword v28, v23, s[0:3], 0 offen offset:40
	s_or_b32 exec_lo, exec_lo, s9
	s_and_saveexec_b32 s9, s8
	s_cbranch_execz .LBB2_79
.LBB2_85:                               ;   in Loop: Header=BB2_80 Depth=1
	buffer_store_dword v20, v27, s[0:3], 0 offen
	s_branch .LBB2_79
.LBB2_86:
	s_or_b32 exec_lo, exec_lo, s6
	s_and_saveexec_b32 s6, s5
	s_cbranch_execz .LBB2_88
; %bb.87:
	v_cmp_gt_f64_e32 vcc_lo, 0, v[18:19]
	v_lshl_add_u32 v20, v24, 2, 0
	v_lshl_add_u32 v19, v26, 2, 0
	;; [unrolled: 1-line block ×3, first 2 shown]
	s_and_b32 s5, s4, vcc_lo
	s_or_b32 s5, s47, s5
	v_cndmask_b32_e64 v21, v25, -1, s5
	buffer_store_dword v26, v20, s[0:3], 0 offen offset:40
	buffer_store_dword v22, v19, s[0:3], 0 offen offset:40
	;; [unrolled: 1-line block ×3, first 2 shown]
.LBB2_88:
	s_or_b32 exec_lo, exec_lo, s6
	buffer_load_dword v28, off, s[0:3], 0 offset:80
	v_mov_b32_e32 v26, 0
	v_mov_b32_e32 v22, 0
	;; [unrolled: 1-line block ×10, first 2 shown]
	s_mov_b32 s13, exec_lo
	s_waitcnt vmcnt(0)
	v_cmpx_lt_i32_e32 -1, v28
	s_cbranch_execz .LBB2_94
; %bb.89:
	v_lshl_add_u32 v18, v28, 2, 0
	v_mov_b32_e32 v20, 0
	v_mov_b32_e32 v24, 0
	v_mov_b32_e32 v22, 0
	v_mov_b32_e32 v21, 0
	buffer_load_dword v32, v18, s[0:3], 0 offen offset:40
	v_mov_b32_e32 v25, 0
	v_mov_b32_e32 v23, 0
	s_mov_b32 s14, exec_lo
	s_waitcnt vmcnt(0)
	v_lshl_add_u32 v18, v32, 2, 0
	buffer_load_dword v137, v18, s[0:3], 0 offen offset:40
	v_mov_b32_e32 v18, 0
	v_mov_b32_e32 v19, 0
	s_waitcnt vmcnt(0)
	v_cmpx_lt_i32_e32 -1, v137
	s_cbranch_execz .LBB2_93
; %bb.90:
	v_cmp_eq_u32_e32 vcc_lo, 1, v28
	v_cmp_eq_u32_e64 s5, 2, v28
	v_cmp_eq_u32_e64 s6, 4, v28
	;; [unrolled: 1-line block ×4, first 2 shown]
	v_cndmask_b32_e32 v18, v85, v83, vcc_lo
	v_cndmask_b32_e32 v19, v84, v82, vcc_lo
	;; [unrolled: 1-line block ×5, first 2 shown]
	v_cndmask_b32_e64 v18, v18, v81, s5
	v_cndmask_b32_e32 v23, v90, v88, vcc_lo
	v_cmp_eq_u32_e32 vcc_lo, 3, v28
	v_cndmask_b32_e64 v20, v20, v5, s5
	v_cndmask_b32_e64 v19, v19, v80, s5
	;; [unrolled: 1-line block ×4, first 2 shown]
	v_cndmask_b32_e32 v18, v18, v93, vcc_lo
	v_cndmask_b32_e32 v20, v20, v7, vcc_lo
	v_cndmask_b32_e64 v23, v23, v86, s5
	v_cmp_eq_u32_e64 s5, 6, v28
	v_cndmask_b32_e32 v19, v19, v92, vcc_lo
	v_cndmask_b32_e64 v18, v18, v95, s6
	v_cndmask_b32_e64 v20, v20, v9, s6
	v_cndmask_b32_e32 v21, v21, v6, vcc_lo
	v_cndmask_b32_e32 v22, v22, v103, vcc_lo
	v_cndmask_b32_e64 v19, v19, v94, s6
	v_cndmask_b32_e64 v18, v18, v115, s7
	;; [unrolled: 1-line block ×3, first 2 shown]
	v_cmp_eq_u32_e64 s9, 8, v28
	v_cmp_eq_u32_e64 s10, 6, v32
	v_cndmask_b32_e64 v19, v19, v127, s7
	v_cndmask_b32_e64 v18, v18, v114, s5
	;; [unrolled: 1-line block ×3, first 2 shown]
	v_cmp_eq_u32_e64 s11, 7, v32
	v_cmp_eq_u32_e64 s12, 8, v32
	v_cndmask_b32_e64 v19, v19, v126, s5
	v_cndmask_b32_e64 v18, v18, v113, s8
	;; [unrolled: 1-line block ×3, first 2 shown]
	v_mov_b32_e32 v24, 0
	v_mov_b32_e32 v25, 0
	v_cndmask_b32_e64 v19, v19, v125, s8
	v_cndmask_b32_e64 v29, v18, v112, s9
	;; [unrolled: 1-line block ×4, first 2 shown]
	v_cndmask_b32_e32 v22, v23, v102, vcc_lo
	v_cndmask_b32_e64 v31, v20, v17, s9
	v_cmp_eq_u32_e32 vcc_lo, 1, v32
	v_cndmask_b32_e64 v18, v18, v10, s7
	v_cndmask_b32_e64 v21, v21, v118, s7
	;; [unrolled: 1-line block ×4, first 2 shown]
	v_cmp_eq_u32_e64 s6, 3, v32
	v_cndmask_b32_e64 v18, v18, v12, s5
	v_cndmask_b32_e64 v19, v21, v116, s5
	;; [unrolled: 1-line block ×3, first 2 shown]
	v_cndmask_b32_e32 v21, v1, v3, vcc_lo
	v_cndmask_b32_e32 v22, v84, v82, vcc_lo
	v_cndmask_b32_e64 v18, v18, v14, s8
	v_cndmask_b32_e64 v19, v19, v119, s8
	;; [unrolled: 1-line block ×3, first 2 shown]
	v_cmp_eq_u32_e64 s5, 2, v32
	v_cmp_eq_u32_e64 s7, 4, v32
	v_cndmask_b32_e64 v30, v18, v16, s9
	v_cndmask_b32_e64 v33, v19, v117, s9
	;; [unrolled: 1-line block ×4, first 2 shown]
	v_cndmask_b32_e32 v20, v0, v2, vcc_lo
	v_cndmask_b32_e64 v22, v22, v80, s5
	v_cmp_eq_u32_e64 s8, 5, v32
	v_cndmask_b32_e32 v23, v91, v89, vcc_lo
	v_cndmask_b32_e64 v19, v21, v7, s6
	v_cndmask_b32_e32 v21, v85, v83, vcc_lo
	v_cndmask_b32_e64 v20, v20, v4, s5
	v_cndmask_b32_e64 v22, v22, v92, s6
	;; [unrolled: 1-line block ×7, first 2 shown]
	v_mul_f64 v[36:37], v[32:33], v[28:29]
	v_cndmask_b32_e64 v19, v19, v11, s8
	v_cndmask_b32_e64 v21, v21, v93, s6
	;; [unrolled: 1-line block ×4, first 2 shown]
	v_mul_f64 v[38:39], v[30:31], v[32:33]
	v_cndmask_b32_e64 v19, v19, v13, s10
	v_cndmask_b32_e64 v21, v21, v95, s7
	v_cndmask_b32_e64 v20, v20, v10, s8
	v_mul_f64 v[40:41], v[32:33], v[32:33]
	v_cndmask_b32_e64 v19, v19, v15, s11
	v_cndmask_b32_e64 v21, v21, v115, s8
	;; [unrolled: 1-line block ×7, first 2 shown]
	v_cndmask_b32_e32 v23, v90, v88, vcc_lo
	v_cndmask_b32_e64 v19, v19, v14, s11
	v_cndmask_b32_e64 v20, v20, v113, s11
	;; [unrolled: 1-line block ×10, first 2 shown]
	v_add_f64 v[48:49], v[34:35], -v[30:31]
	v_mov_b32_e32 v22, 0
	v_add_f64 v[44:45], v[42:43], -v[28:29]
	v_cndmask_b32_e64 v18, v19, v118, s8
	v_cndmask_b32_e64 v19, v20, v104, s7
	v_mov_b32_e32 v20, 0
	v_mov_b32_e32 v23, 0
	v_mov_b32_e32 v21, 0
	v_cndmask_b32_e64 v18, v18, v116, s10
	v_cndmask_b32_e64 v19, v19, v120, s8
	;; [unrolled: 1-line block ×6, first 2 shown]
	v_mov_b32_e32 v18, 0
	v_mov_b32_e32 v19, 0
	v_cndmask_b32_e64 v46, v46, v123, s12
	s_mov_b32 s12, 0
.LBB2_91:                               ; =>This Inner Loop Header: Depth=1
	v_lshl_add_u32 v138, v137, 2, 0
	v_cmp_eq_u32_e32 vcc_lo, 1, v137
	v_cmp_eq_u32_e64 s5, 2, v137
	v_cmp_eq_u32_e64 s6, 3, v137
	;; [unrolled: 1-line block ×7, first 2 shown]
	buffer_load_dword v137, v138, s[0:3], 0 offen offset:40
	v_cndmask_b32_e32 v144, v85, v83, vcc_lo
	v_cndmask_b32_e32 v145, v84, v82, vcc_lo
	;; [unrolled: 1-line block ×5, first 2 shown]
	v_cndmask_b32_e64 v144, v144, v81, s5
	v_cndmask_b32_e64 v145, v145, v80, s5
	v_cndmask_b32_e64 v147, v147, v4, s5
	v_cndmask_b32_e64 v146, v146, v5, s5
	v_cndmask_b32_e32 v149, v90, v88, vcc_lo
	v_cndmask_b32_e64 v144, v144, v93, s6
	v_cndmask_b32_e64 v145, v145, v92, s6
	v_cndmask_b32_e64 v147, v147, v6, s6
	v_cndmask_b32_e64 v148, v148, v87, s5
	v_cndmask_b32_e64 v146, v146, v7, s6
	v_cndmask_b32_e64 v144, v144, v95, s7
	v_cndmask_b32_e64 v145, v145, v94, s7
	v_cndmask_b32_e64 v150, v147, v8, s7
	v_cndmask_b32_e64 v149, v149, v86, s5
	v_cndmask_b32_e64 v148, v148, v103, s6
	v_cndmask_b32_e64 v144, v144, v115, s8
	v_cndmask_b32_e64 v145, v145, v127, s8
	v_cndmask_b32_e64 v146, v146, v9, s7
	v_cndmask_b32_e64 v149, v149, v102, s6
	v_cndmask_b32_e64 v151, v148, v105, s7
	v_cndmask_b32_e64 v144, v144, v114, s9
	v_cndmask_b32_e64 v145, v145, v126, s9
	v_cndmask_b32_e64 v148, v146, v11, s8
	v_cndmask_b32_e64 v152, v149, v104, s7
	v_cndmask_b32_e64 v149, v150, v10, s8
	v_cndmask_b32_e64 v144, v144, v113, s10
	v_cndmask_b32_e64 v147, v145, v125, s10
	v_cndmask_b32_e64 v148, v148, v13, s9
	v_add_f64 v[138:139], v[32:33], v[46:47]
	v_cndmask_b32_e64 v149, v149, v12, s9
	v_cndmask_b32_e64 v145, v144, v112, s11
	;; [unrolled: 1-line block ×4, first 2 shown]
	v_fma_f64 v[142:143], v[46:47], v[46:47], v[40:41]
	v_cndmask_b32_e64 v150, v149, v14, s10
	v_cndmask_b32_e64 v153, v151, v118, s8
	v_add_f64 v[146:147], v[144:145], -v[28:29]
	v_cndmask_b32_e64 v149, v148, v17, s11
	v_cndmask_b32_e64 v152, v152, v120, s8
	;; [unrolled: 1-line block ×4, first 2 shown]
	v_add_f64 v[140:141], v[28:29], v[42:43]
	v_add_f64 v[154:155], v[30:31], v[34:35]
	v_cndmask_b32_e64 v152, v152, v121, s9
	v_add_f64 v[150:151], v[148:149], -v[30:31]
	v_cndmask_b32_e64 v153, v153, v119, s10
	v_fma_f64 v[42:43], v[42:43], v[46:47], v[36:37]
	v_fma_f64 v[34:35], v[34:35], v[46:47], v[38:39]
	v_cndmask_b32_e64 v152, v152, v122, s10
	v_cndmask_b32_e64 v153, v153, v117, s11
	;; [unrolled: 1-line block ×3, first 2 shown]
	v_mul_f64 v[48:49], v[146:147], v[48:49]
	v_add_f64 v[138:139], v[152:153], v[138:139]
	v_fma_f64 v[142:143], v[152:153], v[152:153], v[142:143]
	v_fma_f64 v[42:43], v[152:153], v[144:145], v[42:43]
	;; [unrolled: 1-line block ×3, first 2 shown]
	v_fma_f64 v[44:45], v[150:151], v[44:45], -v[48:49]
	v_add_f64 v[48:49], v[140:141], v[144:145]
	v_add_f64 v[140:141], v[148:149], v[154:155]
	v_fma_f64 v[142:143], v[32:33], v[46:47], v[142:143]
	v_mul_f64 v[154:155], v[138:139], v[44:45]
	v_fma_f64 v[22:23], v[138:139], v[44:45], v[22:23]
	v_fma_f64 v[142:143], v[32:33], v[152:153], v[142:143]
	v_mul_f64 v[48:49], v[48:49], v[154:155]
	v_mul_f64 v[140:141], v[140:141], v[154:155]
	v_fma_f64 v[46:47], v[152:153], v[46:47], v[142:143]
	v_fma_f64 v[42:43], v[42:43], v[44:45], v[48:49]
	;; [unrolled: 1-line block ×3, first 2 shown]
	v_mov_b32_e32 v48, v150
	v_fma_f64 v[18:19], v[44:45], v[46:47], v[18:19]
	v_mov_b32_e32 v44, v146
	v_mov_b32_e32 v46, v152
	;; [unrolled: 1-line block ×5, first 2 shown]
	v_add_f64 v[24:25], v[24:25], v[42:43]
	v_add_f64 v[20:21], v[20:21], v[34:35]
	v_mov_b32_e32 v42, v144
	v_mov_b32_e32 v34, v148
	;; [unrolled: 1-line block ×4, first 2 shown]
	s_waitcnt vmcnt(0)
	v_cmp_gt_i32_e32 vcc_lo, 0, v137
	s_or_b32 s12, vcc_lo, s12
	s_andn2_b32 exec_lo, exec_lo, s12
	s_cbranch_execnz .LBB2_91
; %bb.92:
	s_or_b32 exec_lo, exec_lo, s12
.LBB2_93:
	s_or_b32 exec_lo, exec_lo, s14
.LBB2_94:
	s_or_b32 exec_lo, exec_lo, s13
	s_and_saveexec_b32 s13, s4
	s_cbranch_execz .LBB2_98
; %bb.95:
	v_mov_b32_e32 v26, v110
	s_mov_b32 s14, 0x4ad4b81f
	s_mov_b32 s16, 0
	;; [unrolled: 1-line block ×3, first 2 shown]
.LBB2_96:                               ; =>This Inner Loop Header: Depth=1
	v_lshl_add_u32 v30, v26, 2, 0
	v_cmp_eq_u32_e32 vcc_lo, 1, v26
	v_cmp_eq_u32_e64 s5, 2, v26
	v_cmp_eq_u32_e64 s6, 3, v26
	v_cmp_eq_u32_e64 s7, 4, v26
	v_cmp_eq_u32_e64 s8, 5, v26
	v_cmp_eq_u32_e64 s9, 6, v26
	v_cmp_eq_u32_e64 s10, 7, v26
	v_cmp_eq_u32_e64 s11, 8, v26
	v_cmp_eq_u32_e64 s12, 0, v26
	buffer_load_dword v26, v30, s[0:3], 0 offen
	v_cndmask_b32_e32 v27, v99, v101, vcc_lo
	v_cndmask_b32_e32 v28, v98, v100, vcc_lo
	v_cndmask_b32_e64 v27, v27, v97, s5
	v_cndmask_b32_e64 v28, v28, v96, s5
	;; [unrolled: 1-line block ×14, first 2 shown]
	v_add_f64 v[27:28], -v[27:28], s[14:15]
	v_cndmask_b32_e64 v97, v97, v28, s5
	v_cndmask_b32_e64 v96, v96, v27, s5
	;; [unrolled: 1-line block ×14, first 2 shown]
	v_cndmask_b32_e32 v101, v101, v28, vcc_lo
	v_cndmask_b32_e32 v100, v100, v27, vcc_lo
	v_cndmask_b32_e64 v99, v99, v28, s12
	v_cndmask_b32_e64 v98, v98, v27, s12
	s_waitcnt vmcnt(0)
	v_cmp_gt_i32_e64 s5, 0, v26
	s_or_b32 s16, s5, s16
	s_andn2_b32 exec_lo, exec_lo, s16
	s_cbranch_execnz .LBB2_96
; %bb.97:
	s_or_b32 exec_lo, exec_lo, s16
	v_cmp_eq_u32_e32 vcc_lo, 1, v110
	v_cndmask_b32_e32 v26, v99, v101, vcc_lo
	v_cndmask_b32_e32 v27, v98, v100, vcc_lo
	v_cmp_eq_u32_e32 vcc_lo, 2, v110
	v_cndmask_b32_e32 v26, v26, v97, vcc_lo
	v_cndmask_b32_e32 v27, v27, v96, vcc_lo
	;; [unrolled: 3-line block ×8, first 2 shown]
.LBB2_98:
	s_or_b32 exec_lo, exec_lo, s13
	v_mov_b32_e32 v29, v27
	v_mov_b32_e32 v34, -1
	v_mov_b32_e32 v28, v26
	v_mov_b32_e32 v35, -1
	v_mov_b32_e32 v30, -1
	;; [unrolled: 1-line block ×5, first 2 shown]
	s_and_saveexec_b32 s9, s4
	s_cbranch_execz .LBB2_102
; %bb.99:
	v_mov_b32_e32 v33, v27
	v_mov_b32_e32 v34, -1
	v_mov_b32_e32 v36, v110
	v_mov_b32_e32 v30, -1
	v_mov_b32_e32 v31, -1
	v_mov_b32_e32 v35, -1
	v_mov_b32_e32 v32, v26
	s_mov_b32 s10, 0
.LBB2_100:                              ; =>This Inner Loop Header: Depth=1
	v_lshl_add_u32 v28, v36, 2, 0
	buffer_load_dword v37, v28, s[0:3], 0 offen
	s_waitcnt vmcnt(0)
	v_cmp_gt_i32_e32 vcc_lo, 0, v37
	v_cndmask_b32_e32 v38, v37, v110, vcc_lo
	v_cmp_eq_u32_e64 s5, 1, v38
	v_cmp_eq_u32_e64 s6, 8, v38
	v_cndmask_b32_e64 v28, v99, v101, s5
	v_cndmask_b32_e64 v29, v98, v100, s5
	v_cmp_eq_u32_e64 s5, 2, v38
	v_cndmask_b32_e64 v28, v28, v97, s5
	v_cndmask_b32_e64 v29, v29, v96, s5
	;; [unrolled: 3-line block ×7, first 2 shown]
	v_mov_b32_e32 v28, v32
	v_mov_b32_e32 v29, v33
	v_cndmask_b32_e64 v33, v39, v130, s6
	v_cndmask_b32_e64 v32, v40, v133, s6
	v_cmp_le_f64_e64 s5, 0, v[28:29]
	v_cmp_gt_f64_e64 s7, 0, v[28:29]
	v_cmp_gt_f64_e64 s6, 0, v[32:33]
	v_cmp_le_f64_e64 s8, 0, v[32:33]
	s_and_b32 s5, s5, s6
	s_and_b32 s6, s7, s8
	v_cndmask_b32_e64 v31, v31, v38, s5
	v_cndmask_b32_e64 v35, v35, v38, s6
	;; [unrolled: 1-line block ×4, first 2 shown]
	v_mov_b32_e32 v36, v37
	s_or_b32 s10, vcc_lo, s10
	s_andn2_b32 exec_lo, exec_lo, s10
	s_cbranch_execnz .LBB2_100
; %bb.101:
	s_or_b32 exec_lo, exec_lo, s10
.LBB2_102:
	s_or_b32 exec_lo, exec_lo, s9
	v_mov_b32_e32 v33, -1
	v_cmp_lt_i32_e64 s5, -1, v34
	v_mov_b32_e32 v36, -1
	v_mov_b32_e32 v32, -1
	s_and_saveexec_b32 s47, s5
	s_cbranch_execz .LBB2_104
; %bb.103:
	v_cmp_eq_u32_e64 s8, 1, v31
	v_cmp_eq_u32_e64 s22, 1, v34
	v_cmp_eq_u32_e64 s13, 2, v31
	v_cmp_eq_u32_e64 s16, 2, v34
	v_cmp_eq_u32_e64 s19, 3, v31
	v_cndmask_b32_e64 v32, v99, v101, s8
	v_cndmask_b32_e64 v36, v99, v101, s22
	;; [unrolled: 1-line block ×4, first 2 shown]
	v_cmp_eq_u32_e64 s23, 3, v34
	v_cndmask_b32_e64 v32, v32, v97, s13
	v_cndmask_b32_e64 v36, v36, v97, s16
	;; [unrolled: 1-line block ×4, first 2 shown]
	v_cmp_eq_u32_e64 s15, 4, v31
	v_cndmask_b32_e64 v32, v32, v107, s19
	v_cndmask_b32_e64 v36, v36, v107, s23
	;; [unrolled: 1-line block ×3, first 2 shown]
	v_cmp_eq_u32_e64 s14, 4, v34
	v_cndmask_b32_e64 v38, v38, v106, s23
	v_cndmask_b32_e64 v32, v32, v109, s15
	v_cmp_eq_u32_e64 s17, 5, v31
	v_cndmask_b32_e64 v37, v37, v108, s15
	v_cndmask_b32_e64 v36, v36, v109, s14
	;; [unrolled: 3-line block ×9, first 2 shown]
	v_cndmask_b32_e64 v36, v31, v133, s21
	v_cmp_eq_u32_e64 s45, 1, v111
	v_cndmask_b32_e64 v39, v39, v130, s11
	v_cndmask_b32_e64 v38, v38, v133, s11
	v_cmp_eq_u32_e64 s46, 0, v111
	v_add_f64 v[40:41], -v[36:37], 0
	v_cmp_eq_u32_e64 s43, 3, v111
	v_cmp_eq_u32_e64 s44, 2, v111
	v_add_f64 v[42:43], v[38:39], -v[36:37]
	v_cmp_eq_u32_e64 s25, 1, v30
	v_cmp_eq_u32_e64 s38, 1, v35
	;; [unrolled: 1-line block ×20, first 2 shown]
	v_cndmask_b32_e64 v146, v91, v89, s8
	v_div_scale_f64 v[44:45], null, v[42:43], v[42:43], v[40:41]
	v_div_scale_f64 v[48:49], vcc_lo, v[40:41], v[42:43], v[40:41]
	v_cndmask_b32_e64 v147, v90, v88, s8
	v_cndmask_b32_e64 v144, v91, v89, s22
	;; [unrolled: 1-line block ×11, first 2 shown]
	v_rcp_f64_e32 v[31:32], v[44:45]
	v_fma_f64 v[46:47], -v[44:45], v[31:32], 1.0
	v_fma_f64 v[31:32], v[31:32], v[46:47], v[31:32]
	v_fma_f64 v[46:47], -v[44:45], v[31:32], 1.0
	v_fma_f64 v[46:47], v[31:32], v[46:47], v[31:32]
	buffer_load_dword v32, v136, s[0:3], 0 offen
	v_cndmask_b32_e64 v31, v85, v83, s8
	v_cndmask_b32_e64 v31, v31, v81, s13
	;; [unrolled: 1-line block ×4, first 2 shown]
	v_mul_f64 v[136:137], v[48:49], v[46:47]
	v_cndmask_b32_e64 v31, v31, v115, s17
	v_cndmask_b32_e64 v31, v31, v114, s18
	;; [unrolled: 1-line block ×3, first 2 shown]
	v_fma_f64 v[44:45], -v[44:45], v[136:137], v[48:49]
	v_div_fmas_f64 v[44:45], v[44:45], v[46:47], v[136:137]
	v_cmp_eq_u32_e32 vcc_lo, 8, v111
	v_div_fixup_f64 v[136:137], v[44:45], v[42:43], v[40:41]
	v_cndmask_b32_e64 v40, v84, v82, s8
	v_cndmask_b32_e64 v41, v85, v83, s22
	;; [unrolled: 1-line block ×14, first 2 shown]
	v_add_f64 v[138:139], -v[136:137], 1.0
	v_cndmask_b32_e64 v42, v43, v115, s9
	v_cndmask_b32_e64 v31, v31, v127, s9
	;; [unrolled: 1-line block ×11, first 2 shown]
	v_mul_f64 v[36:37], v[36:37], v[138:139]
	v_mul_f64 v[40:41], v[40:41], v[138:139]
	v_fma_f64 v[142:143], v[38:39], v[136:137], v[36:37]
	v_fma_f64 v[140:141], v[42:43], v[136:137], v[40:41]
	v_cndmask_b32_e64 v36, v100, v142, s45
	v_cndmask_b32_e64 v31, v98, v142, s46
	;; [unrolled: 1-line block ×40, first 2 shown]
	v_cndmask_b32_e32 v43, v133, v142, vcc_lo
	v_cndmask_b32_e32 v98, v130, v143, vcc_lo
	v_cndmask_b32_e64 v99, v99, v49, s27
	v_cndmask_b32_e64 v30, v100, v42, s27
	;; [unrolled: 1-line block ×11, first 2 shown]
	v_add_f64 v[108:109], -v[99:100], 0
	v_cndmask_b32_e32 v124, v124, v140, vcc_lo
	v_add_f64 v[128:129], v[106:107], -v[99:100]
	v_cndmask_b32_e64 v143, v143, v4, s13
	v_cndmask_b32_e64 v142, v142, v7, s19
	;; [unrolled: 1-line block ×21, first 2 shown]
	v_div_scale_f64 v[130:131], null, v[128:129], v[128:129], v[108:109]
	v_cndmask_b32_e64 v140, v140, v4, s16
	v_cndmask_b32_e64 v101, v101, v7, s23
	;; [unrolled: 1-line block ×12, first 2 shown]
	v_rcp_f64_e32 v[132:133], v[130:131]
	v_cndmask_b32_e64 v140, v140, v12, s10
	v_cndmask_b32_e64 v101, v101, v15, s12
	;; [unrolled: 1-line block ×3, first 2 shown]
	v_fma_f64 v[134:135], -v[130:131], v[132:133], 1.0
	v_fma_f64 v[132:133], v[132:133], v[134:135], v[132:133]
	s_waitcnt vmcnt(0)
	v_lshl_add_u32 v30, v32, 2, 0
	v_cndmask_b32_e64 v134, v142, v13, s18
	v_cndmask_b32_e64 v135, v143, v12, s18
	v_cndmask_b32_e64 v142, v146, v105, s15
	v_cndmask_b32_e64 v143, v147, v104, s15
	buffer_load_dword v30, v30, s[0:3], 0 offen
	v_cndmask_b32_e64 v146, v144, v105, s14
	v_cndmask_b32_e64 v134, v134, v15, s20
	;; [unrolled: 1-line block ×12, first 2 shown]
	v_mul_f64 v[134:135], v[134:135], v[138:139]
	v_cndmask_b32_e64 v144, v142, v119, s20
	v_cndmask_b32_e64 v148, v143, v122, s20
	v_fma_f64 v[142:143], -v[130:131], v[132:133], 1.0
	v_cndmask_b32_e64 v146, v146, v116, s10
	v_cndmask_b32_e64 v147, v147, v121, s10
	;; [unrolled: 1-line block ×4, first 2 shown]
	v_cmp_eq_u32_e64 s9, 4, v32
	v_cmp_eq_u32_e64 s10, 3, v32
	;; [unrolled: 1-line block ×3, first 2 shown]
	v_mul_f64 v[138:139], v[144:145], v[138:139]
	v_cndmask_b32_e64 v145, v101, v17, s11
	v_cndmask_b32_e64 v144, v140, v16, s11
	;; [unrolled: 1-line block ×4, first 2 shown]
	v_cmp_eq_u32_e64 s12, 1, v32
	v_fma_f64 v[134:135], v[144:145], v[136:137], v[134:135]
	v_div_scale_f64 v[144:145], s8, v[108:109], v[128:129], v[108:109]
	v_fma_f64 v[132:133], v[132:133], v[142:143], v[132:133]
	v_cndmask_b32_e64 v143, v101, v117, s11
	v_cndmask_b32_e64 v142, v140, v123, s11
	v_cndmask_b32_e32 v101, v112, v141, vcc_lo
	v_cmp_eq_u32_e64 s11, 2, v32
	v_fma_f64 v[136:137], v[142:143], v[136:137], v[138:139]
	v_cndmask_b32_e64 v138, v113, v141, s39
	v_cndmask_b32_e32 v16, v16, v134, vcc_lo
	v_cndmask_b32_e64 v14, v14, v134, s39
	v_cndmask_b32_e64 v139, v12, v134, s40
	v_mul_f64 v[112:113], v[144:145], v[132:133]
	v_cndmask_b32_e64 v140, v10, v134, s41
	v_cndmask_b32_e64 v141, v8, v134, s42
	;; [unrolled: 1-line block ×6, first 2 shown]
	v_cndmask_b32_e32 v17, v17, v135, vcc_lo
	v_cndmask_b32_e64 v15, v15, v135, s39
	v_cndmask_b32_e64 v147, v13, v135, s40
	;; [unrolled: 1-line block ×8, first 2 shown]
	v_cndmask_b32_e32 v123, v123, v136, vcc_lo
	v_cndmask_b32_e32 v117, v117, v137, vcc_lo
	s_mov_b32 vcc_lo, s8
	v_cndmask_b32_e64 v2, v85, v83, s38
	v_cndmask_b32_e64 v4, v85, v83, s25
	;; [unrolled: 1-line block ×3, first 2 shown]
	v_fma_f64 v[0:1], -v[130:131], v[112:113], v[144:145]
	v_cndmask_b32_e64 v3, v84, v82, s38
	v_cndmask_b32_e64 v2, v2, v81, s34
	;; [unrolled: 1-line block ×21, first 2 shown]
	v_div_fmas_f64 v[0:1], v[0:1], v[132:133], v[112:113]
	v_cndmask_b32_e64 v3, v3, v92, s37
	v_cndmask_b32_e64 v2, v2, v95, s35
	;; [unrolled: 1-line block ×21, first 2 shown]
	v_div_fixup_f64 v[0:1], v[0:1], v[128:129], v[108:109]
	v_cndmask_b32_e64 v11, v11, v102, s37
	v_cndmask_b32_e64 v12, v12, v103, s36
	;; [unrolled: 1-line block ×21, first 2 shown]
	v_add_f64 v[2:3], -v[0:1], 1.0
	v_cndmask_b32_e64 v8, v8, v148, s29
	v_cndmask_b32_e64 v9, v9, v140, s29
	;; [unrolled: 1-line block ×21, first 2 shown]
	v_mul_f64 v[4:5], v[4:5], v[2:3]
	v_cndmask_b32_e64 v11, v7, v14, s27
	v_cndmask_b32_e64 v8, v8, v119, s27
	;; [unrolled: 1-line block ×11, first 2 shown]
	v_mul_f64 v[6:7], v[6:7], v[2:3]
	v_cndmask_b32_e64 v12, v91, v121, s24
	v_mul_f64 v[8:9], v[8:9], v[2:3]
	v_mul_f64 v[2:3], v[99:100], v[2:3]
	v_cndmask_b32_e64 v108, v10, v116, s24
	v_cndmask_b32_e64 v10, v13, v138, s6
	;; [unrolled: 1-line block ×4, first 2 shown]
	v_cmp_eq_u32_e32 vcc_lo, 8, v32
	v_cndmask_b32_e64 v86, v108, v119, s6
	v_cndmask_b32_e64 v11, v10, v101, s7
	;; [unrolled: 1-line block ×5, first 2 shown]
	v_cmp_eq_u32_e64 s8, 5, v32
	v_fma_f64 v[4:5], v[10:11], v[0:1], v[4:5]
	v_cndmask_b32_e64 v10, v87, v15, s6
	v_cmp_eq_u32_e64 s6, 7, v32
	v_cndmask_b32_e64 v11, v10, v17, s7
	v_cndmask_b32_e64 v10, v13, v16, s7
	;; [unrolled: 1-line block ×3, first 2 shown]
	v_fma_f64 v[136:137], v[106:107], v[0:1], v[2:3]
	v_cmp_eq_u32_e64 s7, 6, v32
	v_fma_f64 v[86:87], v[10:11], v[0:1], v[6:7]
	v_fma_f64 v[90:91], v[12:13], v[0:1], v[8:9]
	v_cndmask_b32_e32 v112, v101, v5, vcc_lo
	v_cndmask_b32_e32 v124, v124, v4, vcc_lo
	v_cndmask_b32_e64 v113, v138, v5, s6
	v_cndmask_b32_e64 v125, v125, v4, s6
	v_cndmask_b32_e64 v114, v114, v5, s7
	v_cndmask_b32_e64 v126, v126, v4, s7
	v_cndmask_b32_e64 v115, v115, v5, s8
	v_cndmask_b32_e64 v127, v127, v4, s8
	v_cndmask_b32_e64 v95, v95, v5, s9
	v_cndmask_b32_e64 v94, v94, v4, s9
	v_cndmask_b32_e64 v93, v93, v5, s10
	v_cndmask_b32_e64 v92, v92, v4, s10
	v_cndmask_b32_e64 v81, v81, v5, s11
	v_cndmask_b32_e64 v80, v80, v4, s11
	v_cndmask_b32_e64 v83, v83, v5, s12
	v_cndmask_b32_e64 v82, v82, v4, s12
	v_cndmask_b32_e64 v85, v85, v5, s13
	v_cndmask_b32_e64 v84, v84, v4, s13
	v_cndmask_b32_e32 v17, v17, v87, vcc_lo
	v_cndmask_b32_e32 v16, v16, v86, vcc_lo
	v_cndmask_b32_e64 v15, v15, v87, s6
	v_cndmask_b32_e64 v14, v14, v86, s6
	v_cndmask_b32_e64 v13, v147, v87, s7
	v_cndmask_b32_e64 v12, v139, v86, s7
	v_cndmask_b32_e64 v11, v148, v87, s8
	v_cndmask_b32_e64 v10, v140, v86, s8
	v_cndmask_b32_e64 v9, v149, v87, s9
	v_cndmask_b32_e64 v8, v141, v86, s9
	v_cndmask_b32_e64 v7, v150, v87, s10
	v_cndmask_b32_e64 v6, v142, v86, s10
	v_cndmask_b32_e64 v5, v151, v87, s11
	v_cndmask_b32_e64 v4, v143, v86, s11
	v_cndmask_b32_e64 v3, v152, v87, s12
	v_cndmask_b32_e64 v2, v146, v86, s12
	v_cndmask_b32_e64 v1, v135, v87, s13
	v_cndmask_b32_e64 v0, v134, v86, s13
	;; [unrolled: 18-line block ×4, first 2 shown]
	v_mov_b32_e32 v36, v111
	s_waitcnt vmcnt(0)
	buffer_store_dword v30, off, s[0:3], 0 offset:92
.LBB2_104:
	s_or_b32 exec_lo, exec_lo, s47
	buffer_store_dword v33, off, s[0:3], 0 offset:88
	s_and_saveexec_b32 s6, s4
	s_cbranch_execz .LBB2_113
; %bb.105:
	s_mov_b32 s4, 0
	s_branch .LBB2_107
.LBB2_106:                              ;   in Loop: Header=BB2_107 Depth=1
	s_or_b32 exec_lo, exec_lo, s8
	s_waitcnt vmcnt(0)
	v_cmp_gt_i32_e32 vcc_lo, 0, v30
	v_mov_b32_e32 v110, v30
	s_or_b32 s4, vcc_lo, s4
	s_andn2_b32 exec_lo, exec_lo, s4
	s_cbranch_execz .LBB2_113
.LBB2_107:                              ; =>This Inner Loop Header: Depth=1
	v_lshl_add_u32 v31, v110, 2, 0
	v_cmp_eq_u32_e32 vcc_lo, 1, v110
	s_mov_b32 s7, 0
	s_mov_b32 s8, exec_lo
	buffer_load_dword v30, v31, s[0:3], 0 offen
	v_cndmask_b32_e32 v33, v99, v101, vcc_lo
	v_cndmask_b32_e32 v37, v98, v100, vcc_lo
	v_cmp_eq_u32_e32 vcc_lo, 2, v110
	v_cndmask_b32_e32 v33, v33, v97, vcc_lo
	v_cndmask_b32_e32 v37, v37, v96, vcc_lo
	v_cmp_eq_u32_e32 vcc_lo, 3, v110
	;; [unrolled: 3-line block ×7, first 2 shown]
	v_cndmask_b32_e32 v38, v33, v130, vcc_lo
	v_cndmask_b32_e32 v37, v37, v133, vcc_lo
	v_cmpx_ngt_f64_e32 0, v[37:38]
	s_xor_b32 s8, exec_lo, s8
	s_cbranch_execnz .LBB2_110
; %bb.108:                              ;   in Loop: Header=BB2_107 Depth=1
	s_or_saveexec_b32 s8, s8
	v_mov_b32_e32 v33, 0x58
	s_xor_b32 exec_lo, exec_lo, s8
	s_cbranch_execnz .LBB2_111
.LBB2_109:                              ;   in Loop: Header=BB2_107 Depth=1
	s_or_b32 exec_lo, exec_lo, s8
	s_and_saveexec_b32 s8, s7
	s_cbranch_execz .LBB2_106
	s_branch .LBB2_112
.LBB2_110:                              ;   in Loop: Header=BB2_107 Depth=1
	buffer_load_dword v31, off, s[0:3], 0 offset:88
	s_waitcnt vmcnt(0)
	v_cmp_eq_u32_e32 vcc_lo, -1, v31
                                        ; implicit-def: $vgpr31
	s_and_b32 s7, vcc_lo, exec_lo
	s_or_saveexec_b32 s8, s8
	v_mov_b32_e32 v33, 0x58
	s_xor_b32 exec_lo, exec_lo, s8
	s_cbranch_execz .LBB2_109
.LBB2_111:                              ;   in Loop: Header=BB2_107 Depth=1
	buffer_load_dword v37, off, s[0:3], 0 offset:92
	v_mov_b32_e32 v33, 0x5c
	s_or_b32 s7, s7, exec_lo
	s_waitcnt vmcnt(0)
	buffer_store_dword v37, v31, s[0:3], 0 offen
	s_or_b32 exec_lo, exec_lo, s8
	s_and_saveexec_b32 s8, s7
	s_cbranch_execz .LBB2_106
.LBB2_112:                              ;   in Loop: Header=BB2_107 Depth=1
	buffer_store_dword v110, v33, s[0:3], 0 offen
	s_branch .LBB2_106
.LBB2_113:
	s_or_b32 exec_lo, exec_lo, s6
	s_and_saveexec_b32 s4, s5
	s_cbranch_execz .LBB2_115
; %bb.114:
	v_max_f64 v[26:27], v[26:27], v[26:27]
	v_max_f64 v[28:29], v[28:29], v[28:29]
	v_lshl_add_u32 v30, v34, 2, 0
	v_min_f64 v[26:27], v[28:29], v[26:27]
	v_lshl_add_u32 v29, v36, 2, 0
	v_lshl_add_u32 v28, v32, 2, 0
	v_cmp_ngt_f64_e32 vcc_lo, 0, v[26:27]
	v_cndmask_b32_e32 v26, -1, v35, vcc_lo
	buffer_store_dword v36, v30, s[0:3], 0 offen
	buffer_store_dword v32, v29, s[0:3], 0 offen
	;; [unrolled: 1-line block ×3, first 2 shown]
.LBB2_115:
	s_or_b32 exec_lo, exec_lo, s4
	buffer_load_dword v26, off, s[0:3], 0 offset:88
	s_mov_b32 s12, exec_lo
	s_waitcnt vmcnt(0)
	v_cmpx_lt_i32_e32 -1, v26
	s_cbranch_execz .LBB2_119
; %bb.116:
	v_mov_b32_e32 v27, v26
	s_mov_b32 s13, 0
.LBB2_117:                              ; =>This Inner Loop Header: Depth=1
	v_lshl_add_u32 v33, v27, 2, 0
	v_cmp_eq_u32_e32 vcc_lo, 1, v27
	v_cmp_eq_u32_e64 s4, 2, v27
	v_cmp_eq_u32_e64 s5, 3, v27
	;; [unrolled: 1-line block ×8, first 2 shown]
	buffer_load_dword v27, v33, s[0:3], 0 offen
	v_cndmask_b32_e32 v28, v85, v83, vcc_lo
	v_cndmask_b32_e32 v29, v84, v82, vcc_lo
	;; [unrolled: 1-line block ×4, first 2 shown]
	v_cndmask_b32_e64 v28, v28, v81, s4
	v_cndmask_b32_e64 v29, v29, v80, s4
	;; [unrolled: 1-line block ×27, first 2 shown]
	v_add_f64 v[28:29], -v[28:29], 1.0
	v_cndmask_b32_e64 v30, v32, v16, s10
	v_add_f64 v[28:29], v[28:29], -v[30:31]
	v_cndmask_b32_e64 v87, v87, v29, s4
	v_cndmask_b32_e64 v86, v86, v28, s4
	;; [unrolled: 1-line block ×14, first 2 shown]
	v_cndmask_b32_e32 v89, v89, v29, vcc_lo
	v_cndmask_b32_e32 v88, v88, v28, vcc_lo
	v_cndmask_b32_e64 v91, v91, v29, s11
	v_cndmask_b32_e64 v90, v90, v28, s11
	s_waitcnt vmcnt(0)
	v_cmp_gt_i32_e64 s4, 0, v27
	s_or_b32 s13, s4, s13
	s_andn2_b32 exec_lo, exec_lo, s13
	s_cbranch_execnz .LBB2_117
; %bb.118:
	s_or_b32 exec_lo, exec_lo, s13
.LBB2_119:
	s_or_b32 exec_lo, exec_lo, s12
	s_mov_b32 s12, exec_lo
	v_cmpx_lt_i32_e32 -1, v26
	s_cbranch_execz .LBB2_125
; %bb.120:
	v_lshl_add_u32 v27, v26, 2, 0
	s_mov_b32 s13, exec_lo
	buffer_load_dword v30, v27, s[0:3], 0 offen
	s_waitcnt vmcnt(0)
	v_lshl_add_u32 v27, v30, 2, 0
	buffer_load_dword v48, v27, s[0:3], 0 offen
	s_waitcnt vmcnt(0)
	v_cmpx_lt_i32_e32 -1, v48
	s_cbranch_execz .LBB2_124
; %bb.121:
	v_cmp_eq_u32_e32 vcc_lo, 1, v26
	v_cmp_eq_u32_e64 s4, 2, v26
	v_cmp_eq_u32_e64 s5, 4, v26
	;; [unrolled: 1-line block ×4, first 2 shown]
	v_cndmask_b32_e32 v28, v84, v82, vcc_lo
	v_cndmask_b32_e32 v27, v85, v83, vcc_lo
	;; [unrolled: 1-line block ×6, first 2 shown]
	v_cmp_eq_u32_e32 vcc_lo, 3, v26
	v_cndmask_b32_e64 v28, v28, v80, s4
	v_cndmask_b32_e64 v31, v31, v4, s4
	;; [unrolled: 1-line block ×5, first 2 shown]
	v_cndmask_b32_e32 v28, v28, v92, vcc_lo
	v_cndmask_b32_e64 v33, v33, v86, s4
	v_cndmask_b32_e32 v31, v31, v6, vcc_lo
	v_cndmask_b32_e32 v32, v32, v103, vcc_lo
	v_cndmask_b32_e32 v27, v27, v93, vcc_lo
	v_cndmask_b32_e64 v28, v28, v94, s5
	v_cndmask_b32_e32 v29, v29, v7, vcc_lo
	v_cmp_eq_u32_e64 s4, 6, v26
	v_cmp_eq_u32_e64 s8, 8, v26
	v_cndmask_b32_e64 v26, v31, v8, s5
	v_cndmask_b32_e64 v28, v28, v127, s6
	;; [unrolled: 1-line block ×3, first 2 shown]
	v_cndmask_b32_e32 v32, v33, v102, vcc_lo
	v_cndmask_b32_e64 v27, v27, v95, s5
	v_cndmask_b32_e64 v29, v29, v9, s5
	v_cndmask_b32_e64 v28, v28, v126, s4
	v_cndmask_b32_e64 v33, v26, v10, s6
	v_cndmask_b32_e64 v32, v32, v104, s5
	v_cndmask_b32_e64 v27, v27, v115, s6
	v_cndmask_b32_e64 v29, v29, v11, s6
	v_cndmask_b32_e64 v28, v28, v125, s7
	v_cndmask_b32_e64 v31, v31, v118, s6
	v_cndmask_b32_e64 v32, v32, v120, s6
	v_cmp_eq_u32_e32 vcc_lo, 1, v30
	v_cndmask_b32_e64 v27, v27, v114, s4
	v_cndmask_b32_e64 v29, v29, v13, s4
	;; [unrolled: 1-line block ×5, first 2 shown]
	v_cndmask_b32_e32 v33, v1, v3, vcc_lo
	v_cndmask_b32_e64 v32, v32, v121, s4
	v_cmp_eq_u32_e64 s4, 2, v30
	v_cmp_eq_u32_e64 s5, 3, v30
	v_cndmask_b32_e32 v35, v85, v83, vcc_lo
	v_cndmask_b32_e32 v36, v84, v82, vcc_lo
	v_cndmask_b32_e64 v34, v32, v122, s7
	v_cndmask_b32_e64 v33, v33, v5, s4
	v_cmp_eq_u32_e64 s6, 4, v30
	v_cndmask_b32_e64 v27, v27, v113, s7
	v_cndmask_b32_e64 v29, v29, v15, s7
	;; [unrolled: 1-line block ×4, first 2 shown]
	v_cndmask_b32_e32 v33, v0, v2, vcc_lo
	v_cndmask_b32_e64 v31, v31, v119, s7
	v_cndmask_b32_e64 v35, v35, v81, s4
	;; [unrolled: 1-line block ×5, first 2 shown]
	v_cmp_eq_u32_e64 s7, 5, v30
	v_cndmask_b32_e64 v35, v35, v93, s5
	v_cndmask_b32_e64 v36, v36, v92, s5
	v_cmp_eq_u32_e64 s9, 6, v30
	v_cndmask_b32_e64 v33, v33, v6, s5
	v_cndmask_b32_e64 v32, v32, v11, s7
	v_cndmask_b32_e64 v35, v35, v95, s6
	v_cndmask_b32_e64 v36, v36, v94, s6
	v_cmp_eq_u32_e64 s10, 7, v30
	v_cndmask_b32_e64 v33, v33, v8, s6
	v_cndmask_b32_e64 v32, v32, v13, s9
	;; [unrolled: 5-line block ×3, first 2 shown]
	v_cndmask_b32_e64 v27, v27, v112, s8
	v_cndmask_b32_e64 v29, v29, v17, s8
	v_cndmask_b32_e64 v28, v28, v16, s8
	v_cndmask_b32_e64 v30, v37, v12, s9
	v_cndmask_b32_e64 v33, v32, v17, s11
	v_cndmask_b32_e64 v32, v35, v114, s9
	v_cndmask_b32_e64 v35, v36, v126, s9
	v_cndmask_b32_e32 v36, v91, v89, vcc_lo
	v_cndmask_b32_e32 v37, v90, v88, vcc_lo
	v_cndmask_b32_e64 v30, v30, v14, s10
	v_cndmask_b32_e64 v38, v32, v113, s10
	;; [unrolled: 1-line block ×12, first 2 shown]
	v_add_f64 v[46:47], v[32:33], -v[28:29]
	v_cndmask_b32_e64 v44, v35, v105, s6
	v_cndmask_b32_e64 v45, v36, v104, s6
	v_add_f64 v[42:43], v[40:41], -v[26:27]
	v_mul_f64 v[34:35], v[26:27], v[30:31]
	v_mul_f64 v[36:37], v[28:29], v[30:31]
	;; [unrolled: 1-line block ×3, first 2 shown]
	v_cndmask_b32_e64 v44, v44, v118, s7
	v_cndmask_b32_e64 v45, v45, v120, s7
	;; [unrolled: 1-line block ×8, first 2 shown]
	s_mov_b32 s11, 0
.LBB2_122:                              ; =>This Inner Loop Header: Depth=1
	v_lshl_add_u32 v96, v48, 2, 0
	v_cmp_eq_u32_e32 vcc_lo, 1, v48
	v_cmp_eq_u32_e64 s4, 2, v48
	v_cmp_eq_u32_e64 s5, 3, v48
	;; [unrolled: 1-line block ×7, first 2 shown]
	buffer_load_dword v48, v96, s[0:3], 0 offen
	v_cndmask_b32_e32 v49, v85, v83, vcc_lo
	v_cndmask_b32_e32 v106, v84, v82, vcc_lo
	;; [unrolled: 1-line block ×5, first 2 shown]
	v_cndmask_b32_e64 v49, v49, v81, s4
	v_cndmask_b32_e64 v106, v106, v80, s4
	;; [unrolled: 1-line block ×3, first 2 shown]
	v_cndmask_b32_e32 v110, v90, v88, vcc_lo
	v_cndmask_b32_e64 v108, v108, v4, s4
	v_cndmask_b32_e64 v49, v49, v93, s5
	;; [unrolled: 1-line block ×18, first 2 shown]
	v_add_f64 v[96:97], v[30:31], v[44:45]
	v_fma_f64 v[100:101], v[44:45], v[44:45], v[38:39]
	v_cndmask_b32_e64 v130, v129, v118, s7
	v_cndmask_b32_e64 v49, v49, v113, s9
	;; [unrolled: 1-line block ×3, first 2 shown]
	v_add_f64 v[98:99], v[26:27], v[40:41]
	v_add_f64 v[132:133], v[28:29], v[32:33]
	v_cndmask_b32_e64 v130, v130, v116, s8
	v_cndmask_b32_e64 v107, v49, v112, s10
	v_cndmask_b32_e64 v106, v106, v124, s10
	v_cndmask_b32_e64 v49, v110, v104, s6
	v_cndmask_b32_e64 v110, v111, v11, s7
	v_cndmask_b32_e64 v111, v128, v10, s7
	v_cndmask_b32_e64 v130, v130, v119, s9
	v_add_f64 v[108:109], v[106:107], -v[26:27]
	v_cndmask_b32_e64 v49, v49, v120, s7
	v_cndmask_b32_e64 v110, v110, v13, s8
	;; [unrolled: 1-line block ×4, first 2 shown]
	v_fma_f64 v[40:41], v[40:41], v[44:45], v[34:35]
	v_cndmask_b32_e64 v49, v49, v121, s8
	v_cndmask_b32_e64 v110, v110, v15, s9
	;; [unrolled: 1-line block ×3, first 2 shown]
	v_fma_f64 v[32:33], v[32:33], v[44:45], v[36:37]
	v_cndmask_b32_e64 v49, v49, v122, s9
	v_cndmask_b32_e64 v111, v110, v17, s10
	;; [unrolled: 1-line block ×4, first 2 shown]
	v_add_f64 v[128:129], v[110:111], -v[28:29]
	v_add_f64 v[96:97], v[130:131], v[96:97]
	v_mul_f64 v[46:47], v[108:109], v[46:47]
	v_fma_f64 v[100:101], v[130:131], v[130:131], v[100:101]
	v_fma_f64 v[40:41], v[130:131], v[106:107], v[40:41]
	;; [unrolled: 1-line block ×3, first 2 shown]
	v_fma_f64 v[42:43], v[128:129], v[42:43], -v[46:47]
	v_add_f64 v[46:47], v[98:99], v[106:107]
	v_add_f64 v[98:99], v[110:111], v[132:133]
	v_fma_f64 v[100:101], v[30:31], v[44:45], v[100:101]
	v_mul_f64 v[132:133], v[96:97], v[42:43]
	v_fma_f64 v[22:23], v[96:97], v[42:43], v[22:23]
	v_fma_f64 v[100:101], v[30:31], v[130:131], v[100:101]
	v_mul_f64 v[46:47], v[46:47], v[132:133]
	v_mul_f64 v[98:99], v[98:99], v[132:133]
	v_fma_f64 v[44:45], v[130:131], v[44:45], v[100:101]
	v_fma_f64 v[40:41], v[40:41], v[42:43], v[46:47]
	;; [unrolled: 1-line block ×3, first 2 shown]
	v_mov_b32_e32 v46, v128
	v_fma_f64 v[18:19], v[42:43], v[44:45], v[18:19]
	v_mov_b32_e32 v42, v108
	v_mov_b32_e32 v44, v130
	;; [unrolled: 1-line block ×5, first 2 shown]
	v_add_f64 v[24:25], v[24:25], v[40:41]
	v_add_f64 v[20:21], v[20:21], v[32:33]
	v_mov_b32_e32 v40, v106
	v_mov_b32_e32 v32, v110
	;; [unrolled: 1-line block ×4, first 2 shown]
	s_waitcnt vmcnt(0)
	v_cmp_gt_i32_e32 vcc_lo, 0, v48
	s_or_b32 s11, vcc_lo, s11
	s_andn2_b32 exec_lo, exec_lo, s11
	s_cbranch_execnz .LBB2_122
; %bb.123:
	s_or_b32 exec_lo, exec_lo, s11
.LBB2_124:
	s_or_b32 exec_lo, exec_lo, s13
.LBB2_125:
	s_or_b32 exec_lo, exec_lo, s12
	s_mov_b32 s5, 0x3fc55555
	s_mov_b32 s4, 0x55555555
	v_mul_f64 v[0:1], v[22:23], s[4:5]
	s_mov_b32 s5, 0x3fa55555
	v_mul_f64 v[2:3], v[24:25], s[4:5]
	v_mul_f64 v[8:9], v[20:21], s[4:5]
	v_mul_f64 v[10:11], v[18:19], s[4:5]
	v_fma_f64 v[22:23], v[74:75], v[0:1], 0
	v_mul_f64 v[4:5], v[62:63], v[2:3]
	v_mul_f64 v[6:7], v[78:79], v[2:3]
	;; [unrolled: 1-line block ×3, first 2 shown]
	v_fma_f64 v[4:5], v[60:61], v[0:1], v[4:5]
	v_fma_f64 v[6:7], v[50:51], v[0:1], v[6:7]
	;; [unrolled: 1-line block ×12, first 2 shown]
.LBB2_126:
	s_or_b32 exec_lo, exec_lo, s50
	v_mad_u64_u32 v[12:13], null, 0x48, v58, 0
	v_and_b32_e32 v55, 0xffffffc0, v57
	v_mov_b32_e32 v2, 0
	v_mov_b32_e32 v6, v20
	v_mov_b32_e32 v8, 0
	v_mov_b32_e32 v10, 0
	v_mov_b32_e32 v14, 0
	v_mov_b32_e32 v0, v13
	v_mov_b32_e32 v3, 0
	v_mov_b32_e32 v7, v21
	v_mov_b32_e32 v9, 0
	v_mov_b32_e32 v11, 0
	v_mad_u64_u32 v[4:5], null, 0x48, v59, v[0:1]
	v_mov_b32_e32 v0, v22
	v_mov_b32_e32 v1, v23
	;; [unrolled: 1-line block ×6, first 2 shown]
	v_cmp_gt_i64_e32 vcc_lo, v[12:13], v[55:56]
	v_mov_b32_e32 v12, v18
	v_mov_b32_e32 v13, v19
	s_and_saveexec_b32 s4, vcc_lo
	s_cbranch_execz .LBB2_128
; %bb.127:
	v_mov_b32_e32 v0, 0
	v_mov_b32_e32 v4, 0
	;; [unrolled: 1-line block ×16, first 2 shown]
.LBB2_128:
	s_or_b32 exec_lo, exec_lo, s4
	v_mbcnt_lo_u32_b32 v16, -1, 0
	s_mov_b64 s[4:5], 1
	s_waitcnt_vscnt null, 0x0
	s_barrier
	buffer_gl0_inv
.LBB2_129:                              ; =>This Inner Loop Header: Depth=1
	v_xor_b32_e32 v17, s4, v16
	v_cmp_gt_u64_e64 s6, s[4:5], 31
	s_lshl_b64 s[4:5], s[4:5], 1
	v_cmp_gt_i32_e32 vcc_lo, 32, v17
	v_cndmask_b32_e32 v17, v16, v17, vcc_lo
	s_and_b32 vcc_lo, exec_lo, s6
	v_lshlrev_b32_e32 v32, 2, v17
	ds_bpermute_b32 v17, v32, v14
	ds_bpermute_b32 v18, v32, v15
	;; [unrolled: 1-line block ×16, first 2 shown]
	s_waitcnt lgkmcnt(14)
	v_add_f64 v[14:15], v[14:15], v[17:18]
	s_waitcnt lgkmcnt(12)
	v_add_f64 v[10:11], v[10:11], v[19:20]
	;; [unrolled: 2-line block ×8, first 2 shown]
	s_cbranch_vccz .LBB2_129
; %bb.130:
	v_and_b32_e32 v16, 63, v57
	v_mov_b32_e32 v17, 0
	s_mov_b32 s4, exec_lo
	v_cmpx_eq_u64_e32 0, v[16:17]
	s_cbranch_execz .LBB2_132
; %bb.131:
	ds_write2_b64 v17, v[0:1], v[4:5] offset1:2
	ds_write2_b64 v17, v[6:7], v[12:13] offset0:4 offset1:6
	ds_write2_b64 v17, v[14:15], v[10:11] offset0:8 offset1:10
	;; [unrolled: 1-line block ×3, first 2 shown]
.LBB2_132:
	s_or_b32 exec_lo, exec_lo, s4
	v_cmp_gt_u64_e32 vcc_lo, 8, v[16:17]
	s_waitcnt lgkmcnt(0)
	s_barrier
	buffer_gl0_inv
	s_and_b32 exec_lo, exec_lo, vcc_lo
	s_cbranch_execz .LBB2_134
; %bb.133:
	v_lshlrev_b32_e32 v0, 4, v16
	v_lshlrev_b32_e32 v2, 3, v16
	v_add_co_u32 v3, vcc_lo, s48, v55
	v_add_co_ci_u32_e64 v4, null, s49, v56, vcc_lo
	ds_read_b64 v[0:1], v0
	v_add_co_u32 v2, vcc_lo, v3, v2
	v_add_co_ci_u32_e64 v3, null, 0, v4, vcc_lo
	s_waitcnt lgkmcnt(0)
	global_store_dwordx2 v[2:3], v[0:1], off
.LBB2_134:
	s_endpgm
	.section	.rodata,"a",@progbits
	.p2align	6, 0x0
	.amdhsa_kernel _ZN8rajaperf17lambda_hip_forallILm64EZNS_4apps12INTSC_HEXHEX17runHipVariantImplILm64EEEvNS_9VariantIDEEUllE_EEvllT0_
		.amdhsa_group_segment_fixed_size 128
		.amdhsa_private_segment_fixed_size 112
		.amdhsa_kernarg_size 48
		.amdhsa_user_sgpr_count 6
		.amdhsa_user_sgpr_private_segment_buffer 1
		.amdhsa_user_sgpr_dispatch_ptr 0
		.amdhsa_user_sgpr_queue_ptr 0
		.amdhsa_user_sgpr_kernarg_segment_ptr 1
		.amdhsa_user_sgpr_dispatch_id 0
		.amdhsa_user_sgpr_flat_scratch_init 0
		.amdhsa_user_sgpr_private_segment_size 0
		.amdhsa_wavefront_size32 1
		.amdhsa_uses_dynamic_stack 0
		.amdhsa_system_sgpr_private_segment_wavefront_offset 1
		.amdhsa_system_sgpr_workgroup_id_x 1
		.amdhsa_system_sgpr_workgroup_id_y 0
		.amdhsa_system_sgpr_workgroup_id_z 0
		.amdhsa_system_sgpr_workgroup_info 0
		.amdhsa_system_vgpr_workitem_id 0
		.amdhsa_next_free_vgpr 156
		.amdhsa_next_free_sgpr 53
		.amdhsa_reserve_vcc 1
		.amdhsa_reserve_flat_scratch 0
		.amdhsa_float_round_mode_32 0
		.amdhsa_float_round_mode_16_64 0
		.amdhsa_float_denorm_mode_32 3
		.amdhsa_float_denorm_mode_16_64 3
		.amdhsa_dx10_clamp 1
		.amdhsa_ieee_mode 1
		.amdhsa_fp16_overflow 0
		.amdhsa_workgroup_processor_mode 1
		.amdhsa_memory_ordered 1
		.amdhsa_forward_progress 1
		.amdhsa_shared_vgpr_count 0
		.amdhsa_exception_fp_ieee_invalid_op 0
		.amdhsa_exception_fp_denorm_src 0
		.amdhsa_exception_fp_ieee_div_zero 0
		.amdhsa_exception_fp_ieee_overflow 0
		.amdhsa_exception_fp_ieee_underflow 0
		.amdhsa_exception_fp_ieee_inexact 0
		.amdhsa_exception_int_div_zero 0
	.end_amdhsa_kernel
	.section	.text._ZN8rajaperf17lambda_hip_forallILm64EZNS_4apps12INTSC_HEXHEX17runHipVariantImplILm64EEEvNS_9VariantIDEEUllE_EEvllT0_,"axG",@progbits,_ZN8rajaperf17lambda_hip_forallILm64EZNS_4apps12INTSC_HEXHEX17runHipVariantImplILm64EEEvNS_9VariantIDEEUllE_EEvllT0_,comdat
.Lfunc_end2:
	.size	_ZN8rajaperf17lambda_hip_forallILm64EZNS_4apps12INTSC_HEXHEX17runHipVariantImplILm64EEEvNS_9VariantIDEEUllE_EEvllT0_, .Lfunc_end2-_ZN8rajaperf17lambda_hip_forallILm64EZNS_4apps12INTSC_HEXHEX17runHipVariantImplILm64EEEvNS_9VariantIDEEUllE_EEvllT0_
                                        ; -- End function
	.set _ZN8rajaperf17lambda_hip_forallILm64EZNS_4apps12INTSC_HEXHEX17runHipVariantImplILm64EEEvNS_9VariantIDEEUllE_EEvllT0_.num_vgpr, 156
	.set _ZN8rajaperf17lambda_hip_forallILm64EZNS_4apps12INTSC_HEXHEX17runHipVariantImplILm64EEEvNS_9VariantIDEEUllE_EEvllT0_.num_agpr, 0
	.set _ZN8rajaperf17lambda_hip_forallILm64EZNS_4apps12INTSC_HEXHEX17runHipVariantImplILm64EEEvNS_9VariantIDEEUllE_EEvllT0_.numbered_sgpr, 53
	.set _ZN8rajaperf17lambda_hip_forallILm64EZNS_4apps12INTSC_HEXHEX17runHipVariantImplILm64EEEvNS_9VariantIDEEUllE_EEvllT0_.num_named_barrier, 0
	.set _ZN8rajaperf17lambda_hip_forallILm64EZNS_4apps12INTSC_HEXHEX17runHipVariantImplILm64EEEvNS_9VariantIDEEUllE_EEvllT0_.private_seg_size, 112
	.set _ZN8rajaperf17lambda_hip_forallILm64EZNS_4apps12INTSC_HEXHEX17runHipVariantImplILm64EEEvNS_9VariantIDEEUllE_EEvllT0_.uses_vcc, 1
	.set _ZN8rajaperf17lambda_hip_forallILm64EZNS_4apps12INTSC_HEXHEX17runHipVariantImplILm64EEEvNS_9VariantIDEEUllE_EEvllT0_.uses_flat_scratch, 0
	.set _ZN8rajaperf17lambda_hip_forallILm64EZNS_4apps12INTSC_HEXHEX17runHipVariantImplILm64EEEvNS_9VariantIDEEUllE_EEvllT0_.has_dyn_sized_stack, 0
	.set _ZN8rajaperf17lambda_hip_forallILm64EZNS_4apps12INTSC_HEXHEX17runHipVariantImplILm64EEEvNS_9VariantIDEEUllE_EEvllT0_.has_recursion, 0
	.set _ZN8rajaperf17lambda_hip_forallILm64EZNS_4apps12INTSC_HEXHEX17runHipVariantImplILm64EEEvNS_9VariantIDEEUllE_EEvllT0_.has_indirect_call, 0
	.section	.AMDGPU.csdata,"",@progbits
; Kernel info:
; codeLenInByte = 36136
; TotalNumSgprs: 55
; NumVgprs: 156
; ScratchSize: 112
; MemoryBound: 0
; FloatMode: 240
; IeeeMode: 1
; LDSByteSize: 128 bytes/workgroup (compile time only)
; SGPRBlocks: 0
; VGPRBlocks: 19
; NumSGPRsForWavesPerEU: 55
; NumVGPRsForWavesPerEU: 156
; Occupancy: 6
; WaveLimiterHint : 0
; COMPUTE_PGM_RSRC2:SCRATCH_EN: 1
; COMPUTE_PGM_RSRC2:USER_SGPR: 6
; COMPUTE_PGM_RSRC2:TRAP_HANDLER: 0
; COMPUTE_PGM_RSRC2:TGID_X_EN: 1
; COMPUTE_PGM_RSRC2:TGID_Y_EN: 0
; COMPUTE_PGM_RSRC2:TGID_Z_EN: 0
; COMPUTE_PGM_RSRC2:TIDIG_COMP_CNT: 0
	.section	.text._ZN8rajaperf17lambda_hip_forallILm64EZNS_4apps12INTSC_HEXHEX17runHipVariantImplILm64EEEvNS_9VariantIDEEUllE0_EEvllT0_,"axG",@progbits,_ZN8rajaperf17lambda_hip_forallILm64EZNS_4apps12INTSC_HEXHEX17runHipVariantImplILm64EEEvNS_9VariantIDEEUllE0_EEvllT0_,comdat
	.protected	_ZN8rajaperf17lambda_hip_forallILm64EZNS_4apps12INTSC_HEXHEX17runHipVariantImplILm64EEEvNS_9VariantIDEEUllE0_EEvllT0_ ; -- Begin function _ZN8rajaperf17lambda_hip_forallILm64EZNS_4apps12INTSC_HEXHEX17runHipVariantImplILm64EEEvNS_9VariantIDEEUllE0_EEvllT0_
	.globl	_ZN8rajaperf17lambda_hip_forallILm64EZNS_4apps12INTSC_HEXHEX17runHipVariantImplILm64EEEvNS_9VariantIDEEUllE0_EEvllT0_
	.p2align	8
	.type	_ZN8rajaperf17lambda_hip_forallILm64EZNS_4apps12INTSC_HEXHEX17runHipVariantImplILm64EEEvNS_9VariantIDEEUllE0_EEvllT0_,@function
_ZN8rajaperf17lambda_hip_forallILm64EZNS_4apps12INTSC_HEXHEX17runHipVariantImplILm64EEEvNS_9VariantIDEEUllE0_EEvllT0_: ; @_ZN8rajaperf17lambda_hip_forallILm64EZNS_4apps12INTSC_HEXHEX17runHipVariantImplILm64EEEvNS_9VariantIDEEUllE0_EEvllT0_
; %bb.0:
	s_load_dwordx4 s[0:3], s[4:5], 0x0
	s_mov_b32 s7, 0
	s_lshl_b64 s[6:7], s[6:7], 6
	s_waitcnt lgkmcnt(0)
	s_add_u32 s0, s0, s6
	s_addc_u32 s1, s1, s7
	v_add_co_u32 v2, s0, s0, v0
	v_add_co_ci_u32_e64 v3, null, s1, 0, s0
	s_mov_b32 s0, exec_lo
	v_cmpx_gt_i64_e64 s[2:3], v[2:3]
	s_cbranch_execz .LBB3_17
; %bb.1:
	s_clause 0x1
	s_load_dwordx4 s[8:11], s[4:5], 0x10
	s_load_dwordx2 s[0:1], s[4:5], 0x20
	v_lshlrev_b64 v[6:7], 8, v[2:3]
	v_lshlrev_b64 v[4:5], 3, v[2:3]
	s_mov_b32 s2, exec_lo
	s_waitcnt lgkmcnt(0)
	v_mad_u64_u32 v[0:1], null, 0x240, v2, s[10:11]
	v_mad_u64_u32 v[8:9], null, 0x240, v3, v[1:2]
	v_add_co_u32 v2, vcc_lo, s8, v6
	v_add_co_ci_u32_e64 v3, null, s9, v7, vcc_lo
	v_mov_b32_e32 v1, v8
	v_cmpx_gt_u64_e64 s[0:1], v[4:5]
	s_cbranch_execz .LBB3_3
; %bb.2:
	s_clause 0x1
	global_load_dwordx2 v[6:7], v[0:1], off
	global_load_dwordx2 v[8:9], v[0:1], off offset:64
	s_waitcnt vmcnt(0)
	v_add_f64 v[6:7], v[6:7], v[8:9]
	global_store_dwordx2 v[2:3], v[6:7], off
	s_clause 0x1
	global_load_dwordx2 v[6:7], v[0:1], off offset:8
	global_load_dwordx2 v[8:9], v[0:1], off offset:72
	s_waitcnt vmcnt(0)
	v_add_f64 v[6:7], v[6:7], v[8:9]
	global_store_dwordx2 v[2:3], v[6:7], off offset:8
	s_clause 0x1
	global_load_dwordx2 v[6:7], v[0:1], off offset:16
	global_load_dwordx2 v[8:9], v[0:1], off offset:80
	s_waitcnt vmcnt(0)
	v_add_f64 v[6:7], v[6:7], v[8:9]
	global_store_dwordx2 v[2:3], v[6:7], off offset:16
	;; [unrolled: 6-line block ×3, first 2 shown]
.LBB3_3:
	s_or_b32 exec_lo, exec_lo, s2
	v_or_b32_e32 v6, 1, v4
	v_mov_b32_e32 v7, v5
	s_mov_b32 s2, exec_lo
	v_cmpx_gt_u64_e64 s[0:1], v[6:7]
	s_cbranch_execz .LBB3_5
; %bb.4:
	s_clause 0x1
	global_load_dwordx2 v[6:7], v[0:1], off offset:96
	global_load_dwordx2 v[8:9], v[0:1], off offset:128
	s_waitcnt vmcnt(0)
	v_add_f64 v[6:7], v[6:7], v[8:9]
	global_store_dwordx2 v[2:3], v[6:7], off offset:32
	s_clause 0x1
	global_load_dwordx2 v[6:7], v[0:1], off offset:104
	global_load_dwordx2 v[8:9], v[0:1], off offset:136
	s_waitcnt vmcnt(0)
	v_add_f64 v[6:7], v[6:7], v[8:9]
	global_store_dwordx2 v[2:3], v[6:7], off offset:40
	s_clause 0x1
	global_load_dwordx2 v[6:7], v[0:1], off offset:112
	global_load_dwordx2 v[8:9], v[0:1], off offset:144
	s_waitcnt vmcnt(0)
	v_add_f64 v[6:7], v[6:7], v[8:9]
	global_store_dwordx2 v[2:3], v[6:7], off offset:48
	s_clause 0x1
	global_load_dwordx2 v[6:7], v[0:1], off offset:120
	global_load_dwordx2 v[8:9], v[0:1], off offset:152
	s_waitcnt vmcnt(0)
	v_add_f64 v[6:7], v[6:7], v[8:9]
	global_store_dwordx2 v[2:3], v[6:7], off offset:56
.LBB3_5:
	s_or_b32 exec_lo, exec_lo, s2
	v_or_b32_e32 v6, 2, v4
	v_mov_b32_e32 v7, v5
	s_mov_b32 s2, exec_lo
	v_cmpx_gt_u64_e64 s[0:1], v[6:7]
	s_cbranch_execz .LBB3_7
; %bb.6:
	s_clause 0x1
	global_load_dwordx2 v[6:7], v[0:1], off offset:160
	global_load_dwordx2 v[8:9], v[0:1], off offset:192
	s_waitcnt vmcnt(0)
	v_add_f64 v[6:7], v[6:7], v[8:9]
	global_store_dwordx2 v[2:3], v[6:7], off offset:64
	s_clause 0x1
	global_load_dwordx2 v[6:7], v[0:1], off offset:168
	global_load_dwordx2 v[8:9], v[0:1], off offset:200
	s_waitcnt vmcnt(0)
	v_add_f64 v[6:7], v[6:7], v[8:9]
	global_store_dwordx2 v[2:3], v[6:7], off offset:72
	s_clause 0x1
	global_load_dwordx2 v[6:7], v[0:1], off offset:176
	global_load_dwordx2 v[8:9], v[0:1], off offset:208
	s_waitcnt vmcnt(0)
	v_add_f64 v[6:7], v[6:7], v[8:9]
	global_store_dwordx2 v[2:3], v[6:7], off offset:80
	s_clause 0x1
	global_load_dwordx2 v[6:7], v[0:1], off offset:184
	global_load_dwordx2 v[8:9], v[0:1], off offset:216
	s_waitcnt vmcnt(0)
	v_add_f64 v[6:7], v[6:7], v[8:9]
	global_store_dwordx2 v[2:3], v[6:7], off offset:88
.LBB3_7:
	;; [unrolled: 32-line block ×6, first 2 shown]
	s_or_b32 exec_lo, exec_lo, s2
	v_or_b32_e32 v4, 7, v4
	v_cmp_gt_u64_e32 vcc_lo, s[0:1], v[4:5]
	s_and_b32 exec_lo, exec_lo, vcc_lo
	s_cbranch_execz .LBB3_17
; %bb.16:
	s_clause 0x1
	global_load_dwordx2 v[4:5], v[0:1], off offset:480
	global_load_dwordx2 v[6:7], v[0:1], off offset:512
	s_waitcnt vmcnt(0)
	v_add_f64 v[4:5], v[4:5], v[6:7]
	global_store_dwordx2 v[2:3], v[4:5], off offset:224
	s_clause 0x1
	global_load_dwordx2 v[4:5], v[0:1], off offset:488
	global_load_dwordx2 v[6:7], v[0:1], off offset:520
	s_waitcnt vmcnt(0)
	v_add_f64 v[4:5], v[4:5], v[6:7]
	global_store_dwordx2 v[2:3], v[4:5], off offset:232
	;; [unrolled: 6-line block ×4, first 2 shown]
.LBB3_17:
	s_endpgm
	.section	.rodata,"a",@progbits
	.p2align	6, 0x0
	.amdhsa_kernel _ZN8rajaperf17lambda_hip_forallILm64EZNS_4apps12INTSC_HEXHEX17runHipVariantImplILm64EEEvNS_9VariantIDEEUllE0_EEvllT0_
		.amdhsa_group_segment_fixed_size 0
		.amdhsa_private_segment_fixed_size 0
		.amdhsa_kernarg_size 40
		.amdhsa_user_sgpr_count 6
		.amdhsa_user_sgpr_private_segment_buffer 1
		.amdhsa_user_sgpr_dispatch_ptr 0
		.amdhsa_user_sgpr_queue_ptr 0
		.amdhsa_user_sgpr_kernarg_segment_ptr 1
		.amdhsa_user_sgpr_dispatch_id 0
		.amdhsa_user_sgpr_flat_scratch_init 0
		.amdhsa_user_sgpr_private_segment_size 0
		.amdhsa_wavefront_size32 1
		.amdhsa_uses_dynamic_stack 0
		.amdhsa_system_sgpr_private_segment_wavefront_offset 0
		.amdhsa_system_sgpr_workgroup_id_x 1
		.amdhsa_system_sgpr_workgroup_id_y 0
		.amdhsa_system_sgpr_workgroup_id_z 0
		.amdhsa_system_sgpr_workgroup_info 0
		.amdhsa_system_vgpr_workitem_id 0
		.amdhsa_next_free_vgpr 10
		.amdhsa_next_free_sgpr 12
		.amdhsa_reserve_vcc 1
		.amdhsa_reserve_flat_scratch 0
		.amdhsa_float_round_mode_32 0
		.amdhsa_float_round_mode_16_64 0
		.amdhsa_float_denorm_mode_32 3
		.amdhsa_float_denorm_mode_16_64 3
		.amdhsa_dx10_clamp 1
		.amdhsa_ieee_mode 1
		.amdhsa_fp16_overflow 0
		.amdhsa_workgroup_processor_mode 1
		.amdhsa_memory_ordered 1
		.amdhsa_forward_progress 1
		.amdhsa_shared_vgpr_count 0
		.amdhsa_exception_fp_ieee_invalid_op 0
		.amdhsa_exception_fp_denorm_src 0
		.amdhsa_exception_fp_ieee_div_zero 0
		.amdhsa_exception_fp_ieee_overflow 0
		.amdhsa_exception_fp_ieee_underflow 0
		.amdhsa_exception_fp_ieee_inexact 0
		.amdhsa_exception_int_div_zero 0
	.end_amdhsa_kernel
	.section	.text._ZN8rajaperf17lambda_hip_forallILm64EZNS_4apps12INTSC_HEXHEX17runHipVariantImplILm64EEEvNS_9VariantIDEEUllE0_EEvllT0_,"axG",@progbits,_ZN8rajaperf17lambda_hip_forallILm64EZNS_4apps12INTSC_HEXHEX17runHipVariantImplILm64EEEvNS_9VariantIDEEUllE0_EEvllT0_,comdat
.Lfunc_end3:
	.size	_ZN8rajaperf17lambda_hip_forallILm64EZNS_4apps12INTSC_HEXHEX17runHipVariantImplILm64EEEvNS_9VariantIDEEUllE0_EEvllT0_, .Lfunc_end3-_ZN8rajaperf17lambda_hip_forallILm64EZNS_4apps12INTSC_HEXHEX17runHipVariantImplILm64EEEvNS_9VariantIDEEUllE0_EEvllT0_
                                        ; -- End function
	.set _ZN8rajaperf17lambda_hip_forallILm64EZNS_4apps12INTSC_HEXHEX17runHipVariantImplILm64EEEvNS_9VariantIDEEUllE0_EEvllT0_.num_vgpr, 10
	.set _ZN8rajaperf17lambda_hip_forallILm64EZNS_4apps12INTSC_HEXHEX17runHipVariantImplILm64EEEvNS_9VariantIDEEUllE0_EEvllT0_.num_agpr, 0
	.set _ZN8rajaperf17lambda_hip_forallILm64EZNS_4apps12INTSC_HEXHEX17runHipVariantImplILm64EEEvNS_9VariantIDEEUllE0_EEvllT0_.numbered_sgpr, 12
	.set _ZN8rajaperf17lambda_hip_forallILm64EZNS_4apps12INTSC_HEXHEX17runHipVariantImplILm64EEEvNS_9VariantIDEEUllE0_EEvllT0_.num_named_barrier, 0
	.set _ZN8rajaperf17lambda_hip_forallILm64EZNS_4apps12INTSC_HEXHEX17runHipVariantImplILm64EEEvNS_9VariantIDEEUllE0_EEvllT0_.private_seg_size, 0
	.set _ZN8rajaperf17lambda_hip_forallILm64EZNS_4apps12INTSC_HEXHEX17runHipVariantImplILm64EEEvNS_9VariantIDEEUllE0_EEvllT0_.uses_vcc, 1
	.set _ZN8rajaperf17lambda_hip_forallILm64EZNS_4apps12INTSC_HEXHEX17runHipVariantImplILm64EEEvNS_9VariantIDEEUllE0_EEvllT0_.uses_flat_scratch, 0
	.set _ZN8rajaperf17lambda_hip_forallILm64EZNS_4apps12INTSC_HEXHEX17runHipVariantImplILm64EEEvNS_9VariantIDEEUllE0_EEvllT0_.has_dyn_sized_stack, 0
	.set _ZN8rajaperf17lambda_hip_forallILm64EZNS_4apps12INTSC_HEXHEX17runHipVariantImplILm64EEEvNS_9VariantIDEEUllE0_EEvllT0_.has_recursion, 0
	.set _ZN8rajaperf17lambda_hip_forallILm64EZNS_4apps12INTSC_HEXHEX17runHipVariantImplILm64EEEvNS_9VariantIDEEUllE0_EEvllT0_.has_indirect_call, 0
	.section	.AMDGPU.csdata,"",@progbits
; Kernel info:
; codeLenInByte = 1632
; TotalNumSgprs: 14
; NumVgprs: 10
; ScratchSize: 0
; MemoryBound: 1
; FloatMode: 240
; IeeeMode: 1
; LDSByteSize: 0 bytes/workgroup (compile time only)
; SGPRBlocks: 0
; VGPRBlocks: 1
; NumSGPRsForWavesPerEU: 14
; NumVGPRsForWavesPerEU: 10
; Occupancy: 16
; WaveLimiterHint : 1
; COMPUTE_PGM_RSRC2:SCRATCH_EN: 0
; COMPUTE_PGM_RSRC2:USER_SGPR: 6
; COMPUTE_PGM_RSRC2:TRAP_HANDLER: 0
; COMPUTE_PGM_RSRC2:TGID_X_EN: 1
; COMPUTE_PGM_RSRC2:TGID_Y_EN: 0
; COMPUTE_PGM_RSRC2:TGID_Z_EN: 0
; COMPUTE_PGM_RSRC2:TIDIG_COMP_CNT: 0
	.section	.text._ZN4RAJA6policy3hip4impl18forallp_hip_kernelINS1_8hip_execINS_17iteration_mapping6DirectENS_3hip11IndexGlobalILNS_9named_dimE0ELi64ELi0EEENS7_40AvoidDeviceMaxThreadOccupancyConcretizerINS7_34FractionOffsetOccupancyConcretizerINS_8FractionImLm1ELm1EEELln1EEEEELb1EEENS_9Iterators16numeric_iteratorIllPlEEZN8rajaperf4apps12INTSC_HEXHEX17runHipVariantImplILm64EEEvNSM_9VariantIDEEUllE1_lNS_4expt15ForallParamPackIJEEES6_SA_TnNSt9enable_ifIXaasr3std10is_base_ofINS5_10DirectBaseET4_EE5valuegtsrT5_10block_sizeLi0EEmE4typeELm64EEEvT1_T0_T2_T3_,"axG",@progbits,_ZN4RAJA6policy3hip4impl18forallp_hip_kernelINS1_8hip_execINS_17iteration_mapping6DirectENS_3hip11IndexGlobalILNS_9named_dimE0ELi64ELi0EEENS7_40AvoidDeviceMaxThreadOccupancyConcretizerINS7_34FractionOffsetOccupancyConcretizerINS_8FractionImLm1ELm1EEELln1EEEEELb1EEENS_9Iterators16numeric_iteratorIllPlEEZN8rajaperf4apps12INTSC_HEXHEX17runHipVariantImplILm64EEEvNSM_9VariantIDEEUllE1_lNS_4expt15ForallParamPackIJEEES6_SA_TnNSt9enable_ifIXaasr3std10is_base_ofINS5_10DirectBaseET4_EE5valuegtsrT5_10block_sizeLi0EEmE4typeELm64EEEvT1_T0_T2_T3_,comdat
	.protected	_ZN4RAJA6policy3hip4impl18forallp_hip_kernelINS1_8hip_execINS_17iteration_mapping6DirectENS_3hip11IndexGlobalILNS_9named_dimE0ELi64ELi0EEENS7_40AvoidDeviceMaxThreadOccupancyConcretizerINS7_34FractionOffsetOccupancyConcretizerINS_8FractionImLm1ELm1EEELln1EEEEELb1EEENS_9Iterators16numeric_iteratorIllPlEEZN8rajaperf4apps12INTSC_HEXHEX17runHipVariantImplILm64EEEvNSM_9VariantIDEEUllE1_lNS_4expt15ForallParamPackIJEEES6_SA_TnNSt9enable_ifIXaasr3std10is_base_ofINS5_10DirectBaseET4_EE5valuegtsrT5_10block_sizeLi0EEmE4typeELm64EEEvT1_T0_T2_T3_ ; -- Begin function _ZN4RAJA6policy3hip4impl18forallp_hip_kernelINS1_8hip_execINS_17iteration_mapping6DirectENS_3hip11IndexGlobalILNS_9named_dimE0ELi64ELi0EEENS7_40AvoidDeviceMaxThreadOccupancyConcretizerINS7_34FractionOffsetOccupancyConcretizerINS_8FractionImLm1ELm1EEELln1EEEEELb1EEENS_9Iterators16numeric_iteratorIllPlEEZN8rajaperf4apps12INTSC_HEXHEX17runHipVariantImplILm64EEEvNSM_9VariantIDEEUllE1_lNS_4expt15ForallParamPackIJEEES6_SA_TnNSt9enable_ifIXaasr3std10is_base_ofINS5_10DirectBaseET4_EE5valuegtsrT5_10block_sizeLi0EEmE4typeELm64EEEvT1_T0_T2_T3_
	.globl	_ZN4RAJA6policy3hip4impl18forallp_hip_kernelINS1_8hip_execINS_17iteration_mapping6DirectENS_3hip11IndexGlobalILNS_9named_dimE0ELi64ELi0EEENS7_40AvoidDeviceMaxThreadOccupancyConcretizerINS7_34FractionOffsetOccupancyConcretizerINS_8FractionImLm1ELm1EEELln1EEEEELb1EEENS_9Iterators16numeric_iteratorIllPlEEZN8rajaperf4apps12INTSC_HEXHEX17runHipVariantImplILm64EEEvNSM_9VariantIDEEUllE1_lNS_4expt15ForallParamPackIJEEES6_SA_TnNSt9enable_ifIXaasr3std10is_base_ofINS5_10DirectBaseET4_EE5valuegtsrT5_10block_sizeLi0EEmE4typeELm64EEEvT1_T0_T2_T3_
	.p2align	8
	.type	_ZN4RAJA6policy3hip4impl18forallp_hip_kernelINS1_8hip_execINS_17iteration_mapping6DirectENS_3hip11IndexGlobalILNS_9named_dimE0ELi64ELi0EEENS7_40AvoidDeviceMaxThreadOccupancyConcretizerINS7_34FractionOffsetOccupancyConcretizerINS_8FractionImLm1ELm1EEELln1EEEEELb1EEENS_9Iterators16numeric_iteratorIllPlEEZN8rajaperf4apps12INTSC_HEXHEX17runHipVariantImplILm64EEEvNSM_9VariantIDEEUllE1_lNS_4expt15ForallParamPackIJEEES6_SA_TnNSt9enable_ifIXaasr3std10is_base_ofINS5_10DirectBaseET4_EE5valuegtsrT5_10block_sizeLi0EEmE4typeELm64EEEvT1_T0_T2_T3_,@function
_ZN4RAJA6policy3hip4impl18forallp_hip_kernelINS1_8hip_execINS_17iteration_mapping6DirectENS_3hip11IndexGlobalILNS_9named_dimE0ELi64ELi0EEENS7_40AvoidDeviceMaxThreadOccupancyConcretizerINS7_34FractionOffsetOccupancyConcretizerINS_8FractionImLm1ELm1EEELln1EEEEELb1EEENS_9Iterators16numeric_iteratorIllPlEEZN8rajaperf4apps12INTSC_HEXHEX17runHipVariantImplILm64EEEvNSM_9VariantIDEEUllE1_lNS_4expt15ForallParamPackIJEEES6_SA_TnNSt9enable_ifIXaasr3std10is_base_ofINS5_10DirectBaseET4_EE5valuegtsrT5_10block_sizeLi0EEmE4typeELm64EEEvT1_T0_T2_T3_: ; @_ZN4RAJA6policy3hip4impl18forallp_hip_kernelINS1_8hip_execINS_17iteration_mapping6DirectENS_3hip11IndexGlobalILNS_9named_dimE0ELi64ELi0EEENS7_40AvoidDeviceMaxThreadOccupancyConcretizerINS7_34FractionOffsetOccupancyConcretizerINS_8FractionImLm1ELm1EEELln1EEEEELb1EEENS_9Iterators16numeric_iteratorIllPlEEZN8rajaperf4apps12INTSC_HEXHEX17runHipVariantImplILm64EEEvNSM_9VariantIDEEUllE1_lNS_4expt15ForallParamPackIJEEES6_SA_TnNSt9enable_ifIXaasr3std10is_base_ofINS5_10DirectBaseET4_EE5valuegtsrT5_10block_sizeLi0EEmE4typeELm64EEEvT1_T0_T2_T3_
; %bb.0:
	s_load_dwordx8 s[8:15], s[4:5], 0x10
	s_add_u32 s0, s0, s7
	s_mov_b32 s7, 0
	s_addc_u32 s1, s1, 0
	s_lshl_b64 s[6:7], s[6:7], 6
	v_or_b32_e32 v0, s6, v0
	v_mov_b32_e32 v1, s7
	s_mov_b32 s6, exec_lo
	s_waitcnt lgkmcnt(0)
	v_cmpx_gt_i64_e64 s[14:15], v[0:1]
	s_cbranch_execz .LBB4_134
; %bb.1:
	v_add_co_u32 v110, vcc_lo, v0, s12
	v_add_co_ci_u32_e64 v111, null, s13, v1, vcc_lo
	v_mov_b32_e32 v1, 0
	v_mul_hi_u32 v0, 0x38e38e39, v110
	s_load_dwordx4 s[48:51], s[4:5], 0x0
	v_mov_b32_e32 v20, 0
	v_mov_b32_e32 v22, 0
	;; [unrolled: 1-line block ×6, first 2 shown]
	v_mad_u64_u32 v[2:3], null, 0x38e38e39, v111, v[0:1]
	v_mov_b32_e32 v19, 0
	v_mov_b32_e32 v25, 0
	;; [unrolled: 1-line block ×3, first 2 shown]
	v_mad_u64_u32 v[4:5], null, 0xe38e38e, v110, v[0:1]
	v_add_co_u32 v2, s6, v3, v5
	v_add_co_ci_u32_e64 v3, null, 0, 0, s6
	v_mad_u64_u32 v[3:4], null, 0xe38e38e, v111, v[2:3]
	v_ashrrev_i32_e32 v2, 31, v111
	v_mul_lo_u32 v0, 0xe38e38e, v2
	v_mul_lo_u32 v5, 0x38e38e39, v2
	v_mad_u64_u32 v[3:4], null, 0x38e38e39, v2, v[3:4]
	v_add3_u32 v4, v5, v4, v0
	v_ashrrev_i64 v[5:6], 2, v[3:4]
	v_lshrrev_b32_e32 v0, 31, v4
	v_add_co_u32 v56, vcc_lo, v5, v0
	v_add_co_ci_u32_e64 v57, null, 0, v6, vcc_lo
	s_waitcnt lgkmcnt(0)
	v_cmp_gt_u64_e32 vcc_lo, s[50:51], v[56:57]
	s_and_saveexec_b32 s50, vcc_lo
	s_cbranch_execz .LBB4_126
; %bb.2:
	v_mul_hi_u32 v0, 0xaaaaaaab, v110
	v_mad_u64_u32 v[3:4], null, 0xaaaaaaab, v111, v[0:1]
	v_mov_b32_e32 v0, v3
	v_mad_u64_u32 v[5:6], null, 0x2aaaaaaa, v110, v[0:1]
	v_mul_lo_u32 v0, 0x2aaaaaaa, v2
	v_mul_lo_u32 v5, 0xaaaaaaab, v2
	v_add_co_u32 v3, s4, v4, v6
	v_add_co_ci_u32_e64 v4, null, 0, 0, s4
	v_mad_u64_u32 v[3:4], null, 0x2aaaaaaa, v111, v[3:4]
	v_mad_u64_u32 v[2:3], null, 0xaaaaaaab, v2, v[3:4]
	v_add3_u32 v0, v5, v3, v0
	v_lshrrev_b32_e32 v3, 31, v0
	v_add_co_u32 v9, vcc_lo, v2, v3
	v_add_co_ci_u32_e64 v8, null, 0, v0, vcc_lo
	v_mul_hi_u32 v0, 0xaaaaaaab, v9
	v_mad_u64_u32 v[2:3], null, 0xaaaaaaab, v8, v[0:1]
	v_mov_b32_e32 v0, v2
	v_ashrrev_i32_e32 v2, 31, v8
	v_mad_u64_u32 v[0:1], null, 0x2aaaaaaa, v9, v[0:1]
	v_mul_lo_u32 v4, 0xaaaaaaab, v2
	v_add_co_u32 v0, s4, v3, v1
	v_add_co_ci_u32_e64 v1, null, 0, 0, s4
	v_mul_lo_u32 v3, 0x2aaaaaaa, v2
	s_mov_b32 s4, exec_lo
	v_mad_u64_u32 v[0:1], null, 0x2aaaaaaa, v8, v[0:1]
	v_mad_u64_u32 v[0:1], null, 0xaaaaaaab, v2, v[0:1]
	v_add3_u32 v1, v4, v1, v3
                                        ; implicit-def: $vgpr4_vgpr5
	v_ashrrev_i64 v[2:3], 1, v[0:1]
	v_lshrrev_b32_e32 v0, 31, v1
	v_add_co_u32 v0, vcc_lo, v2, v0
	v_add_co_ci_u32_e64 v2, null, 0, v3, vcc_lo
	v_mad_u64_u32 v[0:1], null, v0, 12, 0
	v_mad_u64_u32 v[1:2], null, v2, 12, v[1:2]
	v_sub_co_u32 v2, vcc_lo, v9, v0
	v_sub_co_ci_u32_e64 v3, null, v8, v1, vcc_lo
	v_lshlrev_b64 v[6:7], 2, v[2:3]
	v_cmpx_lt_i64_e32 5, v[2:3]
	s_xor_b32 s4, exec_lo, s4
; %bb.3:
	v_sub_co_u32 v2, vcc_lo, 12, v2
	s_getpc_b64 s[6:7]
	s_add_u32 s6, s6, __const._ZN8rajaperf14hex_intsc_subzEPKdS1_iiRdS2_S2_S2_.cyc_nod@rel32@lo+48
	s_addc_u32 s7, s7, __const._ZN8rajaperf14hex_intsc_subzEPKdS1_iiRdS2_S2_S2_.cyc_nod@rel32@hi+56
	v_sub_co_ci_u32_e64 v3, null, 0, v3, vcc_lo
	v_sub_co_u32 v4, vcc_lo, s6, v6
	v_sub_co_ci_u32_e64 v5, null, s7, v7, vcc_lo
                                        ; implicit-def: $vgpr6_vgpr7
; %bb.4:
	s_or_saveexec_b32 s4, s4
	v_mov_b32_e32 v0, 7
	v_mov_b32_e32 v1, 0
	s_xor_b32 exec_lo, exec_lo, s4
; %bb.5:
	s_getpc_b64 s[6:7]
	s_add_u32 s6, s6, __const._ZN8rajaperf14hex_intsc_subzEPKdS1_iiRdS2_S2_S2_.cyc_nod@rel32@lo+8
	s_addc_u32 s7, s7, __const._ZN8rajaperf14hex_intsc_subzEPKdS1_iiRdS2_S2_S2_.cyc_nod@rel32@hi+16
	v_add_co_u32 v4, vcc_lo, s6, v6
	v_add_co_ci_u32_e64 v5, null, s7, v7, vcc_lo
	v_mov_b32_e32 v0, 0
	v_mov_b32_e32 v1, 0
; %bb.6:
	s_or_b32 exec_lo, exec_lo, s4
	v_mad_u64_u32 v[6:7], null, v9, 6, 0
	s_getpc_b64 s[4:5]
	s_add_u32 s4, s4, __const._ZN8rajaperf14hex_intsc_subzEPKdS1_iiRdS2_S2_S2_.vert_cyc@rel32@lo+4
	s_addc_u32 s5, s5, __const._ZN8rajaperf14hex_intsc_subzEPKdS1_iiRdS2_S2_S2_.vert_cyc@rel32@hi+12
	v_mul_lo_u32 v23, 0xc0, v57
	v_lshlrev_b32_e32 v0, 3, v0
	v_mov_b32_e32 v136, -1
	v_mov_b32_e32 v139, -1
	;; [unrolled: 1-line block ×3, first 2 shown]
	v_mov_b32_e32 v1, v7
	v_sub_co_u32 v6, vcc_lo, v110, v6
	v_mov_b32_e32 v138, -1
	v_mov_b32_e32 v84, 4
	v_mad_u64_u32 v[7:8], null, v8, 6, v[1:2]
	v_add_nc_u16 v1, v6, 1
	v_mov_b32_e32 v85, 5
	v_mov_b32_e32 v86, 6
	;; [unrolled: 1-line block ×4, first 2 shown]
	v_bfe_i32 v8, v1, 0, 8
	v_sub_co_ci_u32_e64 v7, null, v111, v7, vcc_lo
	v_mov_b32_e32 v89, 3
                                        ; implicit-def: $sgpr12
	v_mul_lo_u16 v8, v8, 43
	v_lshlrev_b64 v[6:7], 2, v[6:7]
	v_lshrrev_b16 v9, 15, v8
	v_lshrrev_b16 v8, 8, v8
	v_add_co_u32 v6, vcc_lo, s4, v6
	v_add_co_ci_u32_e64 v7, null, s5, v7, vcc_lo
	v_add_nc_u16 v8, v8, v9
	v_mad_u64_u32 v[9:10], null, 0xc0, v56, s[10:11]
	v_mul_lo_u16 v8, v8, 6
	v_add_nc_u32_e32 v10, v23, v10
	v_sub_nc_u16 v8, v1, v8
	global_load_dword v1, v[6:7], off
	v_bfe_i32 v6, v8, 0, 8
	v_ashrrev_i32_e32 v7, 31, v6
	v_lshlrev_b64 v[6:7], 2, v[6:7]
	v_add_co_u32 v6, vcc_lo, s4, v6
	v_add_co_ci_u32_e64 v7, null, s5, v7, vcc_lo
	s_getpc_b64 s[4:5]
	s_add_u32 s4, s4, __const._ZN8rajaperf14hex_intsc_subzEPKdS1_iiRdS2_S2_S2_.cyc_nod@rel32@lo+4
	s_addc_u32 s5, s5, __const._ZN8rajaperf14hex_intsc_subzEPKdS1_iiRdS2_S2_S2_.cyc_nod@rel32@hi+12
	global_load_dword v6, v[6:7], off
	v_lshlrev_b64 v[7:8], 2, v[2:3]
	v_add_co_u32 v7, vcc_lo, s4, v7
	v_add_co_ci_u32_e64 v8, null, s5, v8, vcc_lo
	s_mov_b32 s4, 0xe48e0530
	s_mov_b32 s5, 0x2b2bff2e
	global_load_dword v3, v[7:8], off
	s_waitcnt vmcnt(2)
	v_ashrrev_i32_e32 v2, 31, v1
	v_lshlrev_b64 v[1:2], 3, v[1:2]
	v_add_co_u32 v1, vcc_lo, v9, v1
	v_add_co_ci_u32_e64 v2, null, v10, v2, vcc_lo
	s_clause 0x3
	global_load_dwordx2 v[58:59], v[9:10], off
	global_load_dwordx4 v[48:51], v[9:10], off offset:56
	global_load_dwordx4 v[52:55], v[9:10], off offset:120
	global_load_dwordx2 v[11:12], v[1:2], off
	global_load_dword v5, v[4:5], off
	s_waitcnt vmcnt(6)
	v_ashrrev_i32_e32 v7, 31, v6
	v_lshlrev_b64 v[6:7], 3, v[6:7]
	v_add_co_u32 v6, vcc_lo, v9, v6
	v_add_co_ci_u32_e64 v7, null, v10, v7, vcc_lo
	s_clause 0x5
	global_load_dwordx2 v[13:14], v[6:7], off offset:64
	global_load_dwordx2 v[15:16], v[6:7], off offset:128
	;; [unrolled: 1-line block ×3, first 2 shown]
	global_load_dwordx2 v[17:18], v[6:7], off
	global_load_dwordx2 v[19:20], v[1:2], off offset:64
	global_load_dwordx2 v[21:22], v[1:2], off offset:128
	v_mad_u64_u32 v[1:2], null, 0xc0, v56, s[8:9]
	s_waitcnt vmcnt(11)
	v_ashrrev_i32_e32 v4, 31, v3
	s_mov_b32 s8, 0
	v_add_nc_u32_e32 v7, v23, v2
	v_lshlrev_b64 v[2:3], 3, v[3:4]
	v_add_co_u32 v23, vcc_lo, v1, v0
	v_add_co_ci_u32_e64 v24, null, 0, v7, vcc_lo
	v_add_co_u32 v2, vcc_lo, v1, v2
	v_add_co_ci_u32_e64 v3, null, v7, v3, vcc_lo
	s_waitcnt vmcnt(9)
	v_add_f64 v[70:71], v[48:49], -v[58:59]
	s_waitcnt vmcnt(8)
	v_add_f64 v[52:53], v[52:53], -v[50:51]
	s_waitcnt vmcnt(7)
	v_add_f64 v[60:61], v[11:12], -v[58:59]
	s_waitcnt vmcnt(6)
	v_ashrrev_i32_e32 v6, 31, v5
	global_load_dwordx2 v[10:11], v[23:24], off offset:64
	v_mov_b32_e32 v49, 2
	v_lshlrev_b64 v[4:5], 3, v[5:6]
	v_add_co_u32 v4, vcc_lo, v1, v4
	v_add_co_ci_u32_e64 v5, null, v7, v5, vcc_lo
	s_clause 0x1
	global_load_dwordx2 v[6:7], v[2:3], off offset:64
	global_load_dwordx2 v[25:26], v[4:5], off offset:64
	v_mul_f64 v[27:28], v[60:61], v[52:53]
	s_waitcnt vmcnt(8)
	v_add_f64 v[62:63], v[13:14], -v[50:51]
	s_waitcnt vmcnt(7)
	v_add_f64 v[64:65], v[15:16], -v[54:55]
	s_clause 0x3
	global_load_dwordx2 v[29:30], v[23:24], off offset:128
	global_load_dwordx2 v[12:13], v[23:24], off
	global_load_dwordx2 v[14:15], v[2:3], off
	;; [unrolled: 1-line block ×3, first 2 shown]
	s_waitcnt vmcnt(10)
	v_add_f64 v[66:67], v[8:9], -v[54:55]
	s_waitcnt vmcnt(9)
	v_add_f64 v[68:69], v[17:18], -v[58:59]
	s_clause 0x1
	global_load_dwordx2 v[2:3], v[2:3], off offset:128
	global_load_dwordx2 v[33:34], v[4:5], off offset:128
	s_waitcnt vmcnt(10)
	v_add_f64 v[76:77], v[19:20], -v[50:51]
	s_waitcnt vmcnt(9)
	v_add_f64 v[74:75], v[21:22], -v[54:55]
	v_mul_f64 v[0:1], v[60:61], v[62:63]
	v_mul_f64 v[8:9], v[64:65], v[27:28]
	v_mul_f64 v[35:36], v[62:63], v[70:71]
	v_mul_f64 v[16:17], v[68:69], v[52:53]
	v_mul_f64 v[20:21], v[68:69], v[66:67]
	v_mul_f64 v[4:5], v[76:77], v[68:69]
	v_fma_f64 v[8:9], v[0:1], v[66:67], -v[8:9]
	v_fma_f64 v[43:44], v[64:65], v[70:71], -v[20:21]
	v_fma_f64 v[8:9], v[74:75], v[16:17], v[8:9]
	v_mul_f64 v[16:17], v[76:77], v[70:71]
	v_fma_f64 v[8:9], -v[4:5], v[66:67], v[8:9]
	v_fma_f64 v[8:9], v[64:65], v[16:17], v[8:9]
	v_fma_f64 v[72:73], -v[74:75], v[35:36], v[8:9]
	v_fma_f64 v[37:38], v[72:73], v[72:73], s[4:5]
	v_div_scale_f64 v[8:9], null, v[37:38], v[37:38], v[72:73]
	v_div_scale_f64 v[39:40], vcc_lo, v[72:73], v[37:38], v[72:73]
	v_rcp_f64_e32 v[16:17], v[8:9]
	v_fma_f64 v[18:19], -v[8:9], v[16:17], 1.0
	v_fma_f64 v[16:17], v[16:17], v[18:19], v[16:17]
	v_fma_f64 v[18:19], -v[8:9], v[16:17], 1.0
	v_fma_f64 v[41:42], v[16:17], v[18:19], v[16:17]
	v_mul_f64 v[18:19], v[64:65], v[52:53]
	s_waitcnt vmcnt(8)
	v_add_f64 v[16:17], v[10:11], -v[50:51]
	v_mul_f64 v[10:11], v[74:75], v[70:71]
	s_waitcnt vmcnt(7)
	v_add_f64 v[22:23], v[6:7], -v[50:51]
	;; [unrolled: 3-line block ×3, first 2 shown]
	v_mul_f64 v[24:25], v[76:77], v[66:67]
	v_fma_f64 v[47:48], v[62:63], v[66:67], -v[18:19]
	v_fma_f64 v[26:27], v[76:77], v[70:71], -v[27:28]
	v_mul_f64 v[78:79], v[16:17], v[43:44]
	v_fma_f64 v[10:11], v[60:61], v[66:67], -v[10:11]
	s_waitcnt vmcnt(4)
	v_add_f64 v[12:13], v[12:13], -v[58:59]
	s_waitcnt vmcnt(3)
	v_add_f64 v[14:15], v[14:15], -v[58:59]
	;; [unrolled: 2-line block ×3, first 2 shown]
	v_add_f64 v[6:7], v[29:30], -v[54:55]
	v_fma_f64 v[29:30], v[68:69], v[52:53], -v[35:36]
	v_mul_f64 v[80:81], v[22:23], v[43:44]
	v_fma_f64 v[39:40], -v[8:9], v[45:46], v[39:40]
	v_mul_f64 v[31:32], v[20:21], v[43:44]
	s_waitcnt vmcnt(1)
	v_add_f64 v[8:9], v[2:3], -v[54:55]
	v_fma_f64 v[24:25], v[74:75], v[52:53], -v[24:25]
	v_mul_f64 v[2:3], v[16:17], v[10:11]
	v_fma_f64 v[35:36], v[12:13], v[47:48], v[78:79]
	v_mul_f64 v[43:44], v[20:21], v[10:11]
	v_div_fmas_f64 v[39:40], v[39:40], v[41:42], v[45:46]
	v_mul_f64 v[41:42], v[22:23], v[10:11]
	v_fma_f64 v[45:46], v[14:15], v[47:48], v[80:81]
	s_waitcnt vmcnt(0)
	v_add_f64 v[10:11], v[33:34], -v[54:55]
	v_fma_f64 v[31:32], v[18:19], v[47:48], v[31:32]
	v_fma_f64 v[33:34], v[12:13], v[24:25], v[2:3]
	;; [unrolled: 1-line block ×3, first 2 shown]
	v_div_fixup_f64 v[2:3], v[39:40], v[37:38], v[72:73]
	v_fma_f64 v[35:36], v[14:15], v[24:25], v[41:42]
	v_fma_f64 v[24:25], v[18:19], v[24:25], v[43:44]
	;; [unrolled: 1-line block ×4, first 2 shown]
	v_mov_b32_e32 v46, 1
	v_fma_f64 v[30:31], v[6:7], v[26:27], v[33:34]
	v_fma_f64 v[40:41], -v[47:48], v[2:3], 1.0
	v_fma_f64 v[42:43], v[8:9], v[26:27], v[35:36]
	v_fma_f64 v[26:27], v[10:11], v[26:27], v[24:25]
	v_fma_f64 v[24:25], -v[38:39], v[2:3], 1.0
	v_fma_f64 v[44:45], -v[28:29], v[2:3], 1.0
	v_mul_f64 v[82:83], v[47:48], v[2:3]
	v_mul_f64 v[80:81], v[38:39], v[2:3]
	;; [unrolled: 1-line block ×4, first 2 shown]
	v_fma_f64 v[108:109], -v[30:31], v[2:3], v[40:41]
	v_mul_f64 v[34:35], v[42:43], v[2:3]
	v_mul_f64 v[36:37], v[26:27], v[2:3]
	v_fma_f64 v[24:25], -v[42:43], v[2:3], v[24:25]
	v_fma_f64 v[26:27], -v[26:27], v[2:3], v[44:45]
	v_mov_b32_e32 v30, 0
	buffer_store_dword v46, off, s[0:3], 0 offset:40
	buffer_store_dword v49, off, s[0:3], 0 offset:44
	buffer_store_dword v84, off, s[0:3], 0 offset:52
	buffer_store_dword v85, off, s[0:3], 0 offset:56
	buffer_store_dword v86, off, s[0:3], 0 offset:60
	buffer_store_dword v87, off, s[0:3], 0 offset:64
	buffer_store_dword v88, off, s[0:3], 0 offset:68
	buffer_store_dword v89, off, s[0:3], 0 offset:84
	buffer_store_dword v136, off, s[0:3], 0 offset:48
	buffer_store_dword v136, off, s[0:3], 0 offset:72
	buffer_store_dword v109, off, s[0:3], 0 offset:4
	buffer_store_dword v108, off, s[0:3], 0
	buffer_store_dword v25, off, s[0:3], 0 offset:12
	buffer_store_dword v24, off, s[0:3], 0 offset:8
	;; [unrolled: 1-line block ×4, first 2 shown]
	v_mov_b32_e32 v28, v108
	v_mov_b32_e32 v29, v109
	s_inst_prefetch 0x1
	.p2align	6
.LBB4_7:                                ; =>This Inner Loop Header: Depth=1
	v_lshl_add_u32 v31, v30, 2, 0
	v_cmp_le_f64_e32 vcc_lo, 0, v[28:29]
	v_cmp_gt_f64_e64 s5, 0, v[28:29]
	v_mov_b32_e32 v137, v138
	buffer_load_dword v31, v31, s[0:3], 0 offen offset:40
	s_waitcnt vmcnt(0)
	v_max_i32_e32 v40, 0, v31
	v_cmp_gt_i32_e64 s7, 0, v31
	v_lshl_add_u32 v39, v40, 3, 0
	s_clause 0x1
	buffer_load_dword v38, v39, s[0:3], 0 offen
	buffer_load_dword v39, v39, s[0:3], 0 offen offset:4
	s_waitcnt vmcnt(0)
	v_cmp_gt_f64_e64 s4, 0, v[38:39]
	v_cmp_le_f64_e64 s6, 0, v[38:39]
	v_mov_b32_e32 v28, v38
	v_mov_b32_e32 v29, v39
	s_and_b32 vcc_lo, vcc_lo, s4
	s_and_b32 s4, s5, s6
	v_cndmask_b32_e32 v141, v141, v40, vcc_lo
	v_cndmask_b32_e64 v138, v137, v40, s4
	s_or_b32 s8, s7, s8
	v_cndmask_b32_e32 v136, v136, v30, vcc_lo
	v_cndmask_b32_e64 v139, v139, v30, s4
	v_mov_b32_e32 v30, v31
	s_andn2_b32 s4, s12, exec_lo
	s_and_b32 s5, s5, exec_lo
	s_or_b32 s12, s4, s5
	s_andn2_b32 exec_lo, exec_lo, s8
	s_cbranch_execnz .LBB4_7
; %bb.8:
	s_inst_prefetch 0x2
	s_or_b32 exec_lo, exec_lo, s8
	v_mul_f64 v[28:29], v[60:61], v[64:65]
	v_mul_f64 v[30:31], v[74:75], v[62:63]
	v_add_f64 v[0:1], v[0:1], -v[4:5]
	v_mov_b32_e32 v38, 0
	v_cmp_lt_i32_e64 s4, -1, v136
	v_mov_b32_e32 v140, -1
	v_mov_b32_e32 v142, -1
	v_mov_b32_e32 v39, v38
	v_mov_b32_e32 v40, v38
	;; [unrolled: 1-line block ×14, first 2 shown]
	v_fma_f64 v[28:29], v[74:75], v[68:69], -v[28:29]
	v_fma_f64 v[30:31], v[76:77], v[64:65], -v[30:31]
	v_mov_b32_e32 v103, v38
	v_mov_b32_e32 v120, v38
	;; [unrolled: 1-line block ×20, first 2 shown]
	v_mul_f64 v[16:17], v[16:17], v[28:29]
	v_mul_f64 v[22:23], v[22:23], v[28:29]
	;; [unrolled: 1-line block ×3, first 2 shown]
	v_mov_b32_e32 v130, v38
	v_mov_b32_e32 v90, v38
	;; [unrolled: 1-line block ×13, first 2 shown]
	v_fma_f64 v[4:5], v[12:13], v[30:31], v[16:17]
	v_fma_f64 v[12:13], v[14:15], v[30:31], v[22:23]
	v_fma_f64 v[14:15], v[18:19], v[30:31], v[20:21]
	v_fma_f64 v[4:5], v[6:7], v[0:1], v[4:5]
	v_fma_f64 v[6:7], v[8:9], v[0:1], v[12:13]
	v_fma_f64 v[0:1], v[10:11], v[0:1], v[14:15]
	v_mul_f64 v[88:89], v[4:5], v[2:3]
	v_mul_f64 v[86:87], v[6:7], v[2:3]
	;; [unrolled: 1-line block ×3, first 2 shown]
	v_fma_f64 v[96:97], -v[4:5], v[2:3], v[108:109]
	v_fma_f64 v[98:99], -v[6:7], v[2:3], v[24:25]
	;; [unrolled: 1-line block ×3, first 2 shown]
	v_mov_b32_e32 v0, v32
	v_mov_b32_e32 v18, v50
	;; [unrolled: 1-line block ×19, first 2 shown]
	v_mov_b32_e32 v18, -1
	v_mov_b32_e32 v19, v51
	v_mov_b32_e32 v20, v52
	v_mov_b32_e32 v21, v53
	v_mov_b32_e32 v22, v54
	v_mov_b32_e32 v23, v55
	v_mov_b32_e32 v24, v56
	v_mov_b32_e32 v25, v57
	v_mov_b32_e32 v26, v58
	v_mov_b32_e32 v27, v59
	v_mov_b32_e32 v28, v60
	v_mov_b32_e32 v29, v61
	v_mov_b32_e32 v30, v62
	v_mov_b32_e32 v31, v63
	s_and_saveexec_b32 s13, s4
	s_cbranch_execz .LBB4_10
; %bb.9:
	v_lshl_add_u32 v1, v141, 3, 0
	v_lshl_add_u32 v3, v136, 3, 0
	;; [unrolled: 1-line block ×4, first 2 shown]
	v_cmp_eq_u32_e64 s5, 1, v136
	s_clause 0x7
	buffer_load_dword v0, v1, s[0:3], 0 offen
	buffer_load_dword v1, v1, s[0:3], 0 offen offset:4
	buffer_load_dword v2, v3, s[0:3], 0 offen
	buffer_load_dword v3, v3, s[0:3], 0 offen offset:4
	;; [unrolled: 2-line block ×4, first 2 shown]
	v_cmp_eq_u32_e64 s6, 1, v141
	v_cndmask_b32_e64 v28, v83, v81, s5
	v_cmp_eq_u32_e64 s8, 2, v136
	v_cmp_eq_u32_e64 s9, 2, v141
	v_cmp_eq_u32_e32 vcc_lo, 1, v138
	v_cndmask_b32_e64 v30, v83, v81, s6
	v_cmp_eq_u32_e64 s7, 1, v139
	v_cndmask_b32_e64 v43, v28, v79, s8
	v_cndmask_b32_e64 v44, v82, v80, s5
	v_cndmask_b32_e32 v39, v83, v81, vcc_lo
	v_cndmask_b32_e64 v45, v30, v79, s9
	v_cndmask_b32_e64 v40, v83, v81, s7
	;; [unrolled: 1-line block ×15, first 2 shown]
	v_cmp_eq_u32_e64 s5, 2, v138
	v_cmp_eq_u32_e64 s6, 2, v139
	v_cndmask_b32_e32 v105, v82, v80, vcc_lo
	v_cndmask_b32_e64 v116, v82, v80, s7
	v_cndmask_b32_e32 v117, v33, v35, vcc_lo
	v_cndmask_b32_e64 v106, v39, v79, s5
	v_cndmask_b32_e64 v107, v40, v79, s6
	v_cndmask_b32_e32 v118, v32, v34, vcc_lo
	v_cndmask_b32_e32 v119, v89, v87, vcc_lo
	;; [unrolled: 1-line block ×3, first 2 shown]
	v_cndmask_b32_e64 v121, v89, v87, s7
	v_cndmask_b32_e64 v122, v88, v86, s7
	v_cndmask_b32_e32 v123, v97, v99, vcc_lo
	v_cndmask_b32_e32 v128, v96, v98, vcc_lo
	v_cndmask_b32_e64 v129, v97, v99, s7
	v_cndmask_b32_e64 v130, v96, v98, s7
	v_cmp_eq_u32_e32 vcc_lo, 3, v136
	v_mov_b32_e32 v142, 3
	v_mov_b32_e32 v18, 4
	;; [unrolled: 1-line block ×22, first 2 shown]
	buffer_store_dword v19, off, s[0:3], 0 offset:84
	s_waitcnt vmcnt(6)
	v_add_f64 v[8:9], -v[0:1], 0
	s_waitcnt vmcnt(2)
	v_add_f64 v[22:23], -v[4:5], 0
	v_add_f64 v[16:17], v[2:3], -v[0:1]
	s_waitcnt vmcnt(0)
	v_add_f64 v[6:7], v[6:7], -v[4:5]
	v_mov_b32_e32 v4, v36
	v_mov_b32_e32 v5, v37
	v_div_scale_f64 v[20:21], null, v[16:17], v[16:17], v[8:9]
	v_div_scale_f64 v[24:25], null, v[6:7], v[6:7], v[22:23]
	v_div_scale_f64 v[41:42], s10, v[8:9], v[16:17], v[8:9]
	v_rcp_f64_e32 v[0:1], v[20:21]
	v_rcp_f64_e32 v[28:29], v[24:25]
	v_fma_f64 v[2:3], -v[20:21], v[0:1], 1.0
	v_fma_f64 v[39:40], -v[24:25], v[28:29], 1.0
	v_fma_f64 v[26:27], v[0:1], v[2:3], v[0:1]
	v_mov_b32_e32 v0, v32
	v_fma_f64 v[28:29], v[28:29], v[39:40], v[28:29]
	v_mov_b32_e32 v1, v33
	v_cndmask_b32_e64 v33, v33, v35, s7
	v_cndmask_b32_e64 v32, v32, v34, s7
	v_cmp_eq_u32_e64 s7, 3, v141
	v_mov_b32_e32 v2, v34
	v_mov_b32_e32 v3, v35
	v_cndmask_b32_e64 v34, v43, 0, vcc_lo
	v_cndmask_b32_e64 v35, v44, v78, s8
	v_cndmask_b32_e64 v43, v45, 0, s7
	;; [unrolled: 1-line block ×12, first 2 shown]
	v_fma_f64 v[30:31], -v[20:21], v[26:27], 1.0
	v_cndmask_b32_e64 v37, v33, v37, s6
	v_cndmask_b32_e64 v36, v32, v36, s6
	v_fma_f64 v[32:33], -v[24:25], v[28:29], 1.0
	v_cndmask_b32_e64 v47, v91, v85, s8
	v_cndmask_b32_e64 v48, v92, v84, s8
	;; [unrolled: 1-line block ×6, first 2 shown]
	v_cmp_eq_u32_e64 s8, 4, v136
	v_cndmask_b32_e64 v35, v35, 0, vcc_lo
	v_cndmask_b32_e64 v40, v40, 0, s7
	v_cndmask_b32_e64 v39, v39, 0, vcc_lo
	v_cmp_eq_u32_e64 s9, 4, v141
	v_cndmask_b32_e64 v34, v34, 0, s8
	v_cndmask_b32_e64 v102, v105, v78, s5
	v_mov_b32_e32 v118, v38
	v_cndmask_b32_e64 v43, v43, 0, s9
	v_fma_f64 v[26:27], v[26:27], v[30:31], v[26:27]
	v_fma_f64 v[28:29], v[28:29], v[32:33], v[28:29]
	v_cndmask_b32_e64 v32, v39, 0, s8
	v_cndmask_b32_e64 v33, v40, 0, s9
	v_mul_f64 v[30:31], v[41:42], v[26:27]
	v_fma_f64 v[20:21], -v[20:21], v[30:31], v[41:42]
	v_cndmask_b32_e64 v41, v44, 0, s7
	v_cndmask_b32_e64 v42, v45, 0, vcc_lo
	v_cndmask_b32_e64 v44, v46, 0, s7
	v_cndmask_b32_e64 v45, v47, 0, vcc_lo
	v_cndmask_b32_e64 v46, v48, 0, vcc_lo
	v_cndmask_b32_e64 v47, v49, 0, s7
	v_cndmask_b32_e64 v48, v90, 0, s7
	v_cndmask_b32_e64 v49, v91, 0, vcc_lo
	v_cndmask_b32_e64 v90, v92, 0, vcc_lo
	v_cndmask_b32_e64 v91, v93, 0, s7
	v_cndmask_b32_e64 v92, v100, 0, s7
	v_cmp_eq_u32_e64 s7, 5, v136
	s_mov_b32 vcc_lo, s10
	v_cndmask_b32_e64 v100, v35, 0, s8
	v_cndmask_b32_e64 v39, v44, 0, s9
	;; [unrolled: 1-line block ×4, first 2 shown]
	v_div_scale_f64 v[34:35], s11, v[22:23], v[6:7], v[22:23]
	v_cndmask_b32_e64 v45, v90, 0, s8
	v_cndmask_b32_e64 v44, v49, 0, s8
	v_div_fmas_f64 v[20:21], v[20:21], v[26:27], v[30:31]
	v_cmp_eq_u32_e32 vcc_lo, 5, v141
	v_cndmask_b32_e64 v30, v41, 0, s9
	v_cndmask_b32_e64 v31, v42, 0, s8
	;; [unrolled: 1-line block ×4, first 2 shown]
	v_cndmask_b32_e64 v26, v43, 0, vcc_lo
	v_cndmask_b32_e64 v43, v48, 0, s9
	v_cndmask_b32_e64 v46, v91, 0, s9
	;; [unrolled: 1-line block ×3, first 2 shown]
	v_cmp_eq_u32_e64 s9, 6, v141
	v_cmp_eq_u32_e64 s8, 6, v136
	v_cndmask_b32_e64 v49, v100, 0, s7
	v_cndmask_b32_e64 v30, v30, 0, vcc_lo
	v_cmp_eq_u32_e64 s10, 7, v141
	v_cndmask_b32_e64 v90, v26, 0, s9
	v_cndmask_b32_e64 v48, v93, 0, s8
	v_mul_f64 v[26:27], v[34:35], v[28:29]
	v_cndmask_b32_e64 v30, v30, 0, s9
	v_div_fixup_f64 v[8:9], v[20:21], v[16:17], v[8:9]
	v_cndmask_b32_e64 v16, v31, 0, s7
	v_cndmask_b32_e64 v20, v32, 0, s7
	v_cndmask_b32_e64 v32, v39, 0, vcc_lo
	v_cndmask_b32_e64 v39, v41, 0, s7
	v_cndmask_b32_e64 v41, v43, 0, vcc_lo
	v_cndmask_b32_e64 v43, v45, 0, s7
	v_cndmask_b32_e64 v45, v47, 0, vcc_lo
	v_cndmask_b32_e64 v47, v49, 0, s8
	v_cndmask_b32_e64 v49, v16, 0, s8
	v_cndmask_b32_e64 v31, v33, 0, vcc_lo
	v_cndmask_b32_e64 v33, v40, 0, s7
	v_cndmask_b32_e64 v40, v42, 0, vcc_lo
	;; [unrolled: 2-line block ×3, first 2 shown]
	v_cmp_eq_u32_e64 s7, 7, v136
	v_cndmask_b32_e64 v30, v30, 0, s10
	s_mov_b32 vcc_lo, s11
	v_fma_f64 v[16:17], -v[24:25], v[26:27], v[34:35]
	v_cndmask_b32_e64 v34, v20, 0, s8
	v_cndmask_b32_e64 v46, v48, 0, s7
	;; [unrolled: 1-line block ×3, first 2 shown]
	v_add_f64 v[20:21], -v[8:9], 1.0
	v_cndmask_b32_e64 v24, v31, 0, s9
	v_cndmask_b32_e64 v31, v32, 0, s9
	;; [unrolled: 1-line block ×8, first 2 shown]
	v_cmp_eq_u32_e64 s9, 8, v141
	v_cndmask_b32_e64 v44, v24, 0, s10
	v_cndmask_b32_e64 v31, v31, 0, s10
	;; [unrolled: 1-line block ×8, first 2 shown]
	v_div_fmas_f64 v[16:17], v[16:17], v[28:29], v[26:27]
	v_cndmask_b32_e64 v26, v44, 0, s9
	v_cndmask_b32_e64 v29, v33, 0, s9
	v_cmp_eq_u32_e32 vcc_lo, 8, v136
	v_mul_f64 v[27:28], v[24:25], v[20:21]
	v_cndmask_b32_e64 v25, v31, 0, s9
	v_cndmask_b32_e64 v31, v41, 0, s10
	;; [unrolled: 1-line block ×3, first 2 shown]
	v_mul_f64 v[29:30], v[29:30], v[20:21]
	v_cndmask_b32_e64 v33, v46, 0, vcc_lo
	v_mul_f64 v[24:25], v[25:26], v[20:21]
	v_cndmask_b32_e64 v32, v31, 0, s9
	v_cndmask_b32_e64 v31, v41, 0, s9
	;; [unrolled: 1-line block ×6, first 2 shown]
	v_mul_f64 v[20:21], v[31:32], v[20:21]
	v_cndmask_b32_e64 v31, v49, 0, s7
	v_cndmask_b32_e64 v32, v41, 0, vcc_lo
	v_cndmask_b32_e64 v39, v39, 0, s7
	v_cndmask_b32_e64 v26, v26, 0, s7
	v_div_fixup_f64 v[22:23], v[16:17], v[6:7], v[22:23]
	v_cndmask_b32_e64 v7, v31, 0, vcc_lo
	v_cndmask_b32_e64 v6, v34, 0, vcc_lo
	;; [unrolled: 1-line block ×3, first 2 shown]
	v_fma_f64 v[90:91], v[32:33], v[8:9], v[27:28]
	v_cndmask_b32_e64 v27, v40, 0, s7
	v_cndmask_b32_e64 v16, v39, 0, vcc_lo
	v_cndmask_b32_e64 v28, v119, v85, s5
	v_cmp_eq_u32_e64 s7, 4, v139
	v_mov_b32_e32 v119, v38
	v_fma_f64 v[6:7], v[6:7], v[8:9], v[24:25]
	v_cndmask_b32_e64 v25, v27, 0, vcc_lo
	v_cndmask_b32_e64 v24, v26, 0, vcc_lo
	v_fma_f64 v[100:101], v[16:17], v[8:9], v[29:30]
	v_cndmask_b32_e64 v16, v120, v84, s5
	v_cndmask_b32_e64 v17, v121, v85, s6
	;; [unrolled: 1-line block ×3, first 2 shown]
	v_fma_f64 v[104:105], v[24:25], v[8:9], v[20:21]
	v_cndmask_b32_e64 v20, v123, v95, s5
	v_cndmask_b32_e64 v21, v128, v94, s5
	;; [unrolled: 1-line block ×4, first 2 shown]
	v_cmp_eq_u32_e32 vcc_lo, 3, v138
	v_cmp_eq_u32_e64 s5, 3, v139
	v_cmp_eq_u32_e64 s6, 4, v138
	v_add_f64 v[8:9], -v[22:23], 1.0
	v_mov_b32_e32 v120, v38
	v_cndmask_b32_e32 v27, v106, v91, vcc_lo
	v_cndmask_b32_e32 v29, v102, v90, vcc_lo
	v_cndmask_b32_e64 v30, v107, v91, s5
	v_cndmask_b32_e64 v31, v103, v90, s5
	v_mov_b32_e32 v121, v38
	v_cndmask_b32_e32 v32, v116, v7, vcc_lo
	v_cndmask_b32_e64 v34, v37, v7, s5
	v_cndmask_b32_e64 v35, v36, v6, s5
	v_cndmask_b32_e32 v16, v16, v100, vcc_lo
	v_cndmask_b32_e64 v17, v17, v101, s5
	v_cndmask_b32_e64 v26, v26, v100, s5
	v_cndmask_b32_e32 v33, v117, v6, vcc_lo
	v_cndmask_b32_e32 v20, v20, v105, vcc_lo
	;; [unrolled: 1-line block ×3, first 2 shown]
	v_cndmask_b32_e64 v24, v24, v105, s5
	v_cndmask_b32_e64 v25, v25, v104, s5
	v_cndmask_b32_e32 v28, v28, v101, vcc_lo
	v_cndmask_b32_e64 v27, v27, 0, s6
	v_cmp_eq_u32_e32 vcc_lo, 5, v138
	v_cndmask_b32_e64 v29, v29, 0, s6
	v_cndmask_b32_e64 v30, v30, 0, s7
	v_cmp_eq_u32_e64 s5, 5, v139
	v_cndmask_b32_e64 v31, v31, 0, s7
	v_cndmask_b32_e64 v32, v32, 0, s6
	;; [unrolled: 1-line block ×13, first 2 shown]
	v_cndmask_b32_e64 v27, v27, 0, vcc_lo
	v_cmp_eq_u32_e64 s6, 6, v138
	v_cndmask_b32_e64 v29, v29, 0, vcc_lo
	v_cndmask_b32_e64 v30, v30, 0, s5
	v_cmp_eq_u32_e64 s7, 6, v139
	v_cndmask_b32_e64 v31, v31, 0, s5
	v_cndmask_b32_e64 v32, v32, 0, vcc_lo
	v_cndmask_b32_e64 v34, v34, 0, s5
	v_cndmask_b32_e64 v35, v35, 0, s5
	v_cndmask_b32_e64 v16, v16, 0, vcc_lo
	v_cndmask_b32_e64 v17, v17, 0, s5
	v_cndmask_b32_e64 v26, v26, 0, s5
	v_cndmask_b32_e64 v20, v20, 0, vcc_lo
	v_cndmask_b32_e64 v36, v21, 0, vcc_lo
	v_cndmask_b32_e64 v21, v24, 0, s5
	v_cndmask_b32_e64 v24, v25, 0, s5
	v_cndmask_b32_e64 v33, v33, 0, vcc_lo
	v_cndmask_b32_e64 v28, v28, 0, vcc_lo
	v_cndmask_b32_e64 v37, v27, 0, s6
	v_cndmask_b32_e64 v39, v29, 0, s6
	;; [unrolled: 1-line block ×3, first 2 shown]
	v_cmp_eq_u32_e64 s5, 7, v139
	v_cndmask_b32_e64 v27, v31, 0, s7
	v_cndmask_b32_e64 v30, v32, 0, s6
	;; [unrolled: 1-line block ×13, first 2 shown]
	v_cmp_eq_u32_e64 s7, 8, v139
	v_cndmask_b32_e64 v25, v27, 0, s5
	v_cndmask_b32_e64 v26, v29, 0, s5
	;; [unrolled: 1-line block ×15, first 2 shown]
	v_mul_f64 v[28:29], v[8:9], v[16:17]
	v_mul_f64 v[20:21], v[8:9], v[20:21]
	;; [unrolled: 1-line block ×3, first 2 shown]
	v_cmp_eq_u32_e32 vcc_lo, 7, v138
	v_mul_f64 v[26:27], v[8:9], v[26:27]
	v_cndmask_b32_e64 v32, v36, 0, s6
	v_cmp_eq_u32_e64 s5, 8, v138
	v_mov_b32_e32 v116, v38
	v_cndmask_b32_e64 v8, v37, 0, vcc_lo
	v_cndmask_b32_e64 v16, v39, 0, vcc_lo
	;; [unrolled: 1-line block ×8, first 2 shown]
	v_cndmask_b32_e64 v9, v8, 0, s5
	v_cndmask_b32_e64 v8, v16, 0, s5
	;; [unrolled: 1-line block ×8, first 2 shown]
	v_fma_f64 v[92:93], v[22:23], v[8:9], v[28:29]
	v_fma_f64 v[8:9], v[22:23], v[30:31], v[20:21]
	;; [unrolled: 1-line block ×3, first 2 shown]
	v_mov_b32_e32 v16, v38
	v_fma_f64 v[106:107], v[22:23], v[34:35], v[26:27]
	v_mov_b32_e32 v17, v38
	v_mov_b32_e32 v122, v38
	;; [unrolled: 1-line block ×7, first 2 shown]
.LBB4_10:
	s_or_b32 exec_lo, exec_lo, s13
	s_mov_b32 s5, 0
	buffer_store_dword v140, off, s[0:3], 0 offset:80
	s_branch .LBB4_12
.LBB4_11:                               ;   in Loop: Header=BB4_12 Depth=1
	s_or_b32 exec_lo, exec_lo, s7
	s_waitcnt vmcnt(0)
	v_cmp_gt_i32_e32 vcc_lo, 0, v19
	v_mov_b32_e32 v38, v19
	s_or_b32 s5, vcc_lo, s5
	s_andn2_b32 exec_lo, exec_lo, s5
	s_cbranch_execz .LBB4_18
.LBB4_12:                               ; =>This Inner Loop Header: Depth=1
	v_lshlrev_b32_e32 v19, 2, v38
	s_mov_b32 s6, 0
	s_mov_b32 s7, exec_lo
	v_mov_b32_e32 v20, v19
	v_add_nc_u32_e32 v19, v20, v19
	s_clause 0x2
	buffer_load_dword v21, v19, s[0:3], 0 offen
	buffer_load_dword v22, v19, s[0:3], 0 offen offset:4
	buffer_load_dword v19, v20, s[0:3], 0 offen offset:40
	s_waitcnt vmcnt(1)
	v_cmpx_ngt_f64_e32 0, v[21:22]
	s_xor_b32 s7, exec_lo, s7
	s_cbranch_execnz .LBB4_15
; %bb.13:                               ;   in Loop: Header=BB4_12 Depth=1
	s_or_saveexec_b32 s7, s7
	v_mov_b32_e32 v21, 0x50
	s_xor_b32 exec_lo, exec_lo, s7
	s_cbranch_execnz .LBB4_16
.LBB4_14:                               ;   in Loop: Header=BB4_12 Depth=1
	s_or_b32 exec_lo, exec_lo, s7
	s_and_saveexec_b32 s7, s6
	s_cbranch_execz .LBB4_11
	s_branch .LBB4_17
.LBB4_15:                               ;   in Loop: Header=BB4_12 Depth=1
	buffer_load_dword v20, off, s[0:3], 0 offset:80
	s_waitcnt vmcnt(0)
	v_cmp_eq_u32_e32 vcc_lo, -1, v20
                                        ; implicit-def: $vgpr20
	s_and_b32 s6, vcc_lo, exec_lo
	s_or_saveexec_b32 s7, s7
	v_mov_b32_e32 v21, 0x50
	s_xor_b32 exec_lo, exec_lo, s7
	s_cbranch_execz .LBB4_14
.LBB4_16:                               ;   in Loop: Header=BB4_12 Depth=1
	buffer_load_dword v22, off, s[0:3], 0 offset:84
	v_mov_b32_e32 v21, 0x54
	s_or_b32 s6, s6, exec_lo
	s_waitcnt vmcnt(0)
	buffer_store_dword v22, v20, s[0:3], 0 offen offset:40
	s_or_b32 exec_lo, exec_lo, s7
	s_and_saveexec_b32 s7, s6
	s_cbranch_execz .LBB4_11
.LBB4_17:                               ;   in Loop: Header=BB4_12 Depth=1
	buffer_store_dword v38, v21, s[0:3], 0 offen
	s_branch .LBB4_11
.LBB4_18:
	s_or_b32 exec_lo, exec_lo, s5
	s_and_saveexec_b32 s5, s4
	s_cbranch_execz .LBB4_20
; %bb.19:
	v_cmp_gt_f64_e32 vcc_lo, 0, v[108:109]
	v_lshl_add_u32 v19, v136, 2, 0
	v_lshl_add_u32 v20, v142, 2, 0
	;; [unrolled: 1-line block ×3, first 2 shown]
	s_or_b32 s4, s12, vcc_lo
	v_cndmask_b32_e64 v21, v137, -1, s4
	buffer_store_dword v142, v19, s[0:3], 0 offen offset:40
	buffer_store_dword v18, v20, s[0:3], 0 offen offset:40
	;; [unrolled: 1-line block ×3, first 2 shown]
.LBB4_20:
	s_or_b32 exec_lo, exec_lo, s5
	buffer_load_dword v24, off, s[0:3], 0 offset:80
	v_mov_b32_e32 v25, -1
	v_mov_b32_e32 v26, -1
	;; [unrolled: 1-line block ×4, first 2 shown]
	s_mov_b32 s51, 0
	v_mov_b32_e32 v21, -1
	v_mov_b32_e32 v22, -1
	s_waitcnt vmcnt(0)
	v_cmp_eq_u32_e32 vcc_lo, 1, v24
	v_cmp_eq_u32_e64 s4, 7, v24
	v_cndmask_b32_e32 v18, v83, v81, vcc_lo
	v_cndmask_b32_e32 v19, v82, v80, vcc_lo
	v_cmp_eq_u32_e32 vcc_lo, 2, v24
	v_cndmask_b32_e32 v18, v18, v79, vcc_lo
	v_cndmask_b32_e32 v19, v19, v78, vcc_lo
	v_cmp_eq_u32_e32 vcc_lo, 3, v24
	;; [unrolled: 3-line block ×6, first 2 shown]
	v_cndmask_b32_e64 v18, v18, v113, s4
	v_cndmask_b32_e64 v23, v19, v125, s4
	v_cmp_lt_i32_e64 s4, -1, v24
	v_cndmask_b32_e32 v19, v18, v112, vcc_lo
	v_cndmask_b32_e32 v18, v23, v124, vcc_lo
	s_and_saveexec_b32 s9, s4
	s_cbranch_execz .LBB4_24
; %bb.21:
	v_mov_b32_e32 v23, v19
	v_mov_b32_e32 v25, -1
	v_mov_b32_e32 v27, v24
	v_mov_b32_e32 v20, -1
	v_mov_b32_e32 v21, -1
	;; [unrolled: 1-line block ×3, first 2 shown]
	v_mov_b32_e32 v22, v18
	s_mov_b32 s10, 0
                                        ; implicit-def: $sgpr11
.LBB4_22:                               ; =>This Inner Loop Header: Depth=1
	v_lshl_add_u32 v28, v27, 2, 0
	v_cmp_gt_f64_e64 s7, 0, v[22:23]
	buffer_load_dword v30, v28, s[0:3], 0 offen offset:40
	s_waitcnt vmcnt(0)
	v_cmp_gt_i32_e32 vcc_lo, 0, v30
	v_cndmask_b32_e32 v31, v30, v24, vcc_lo
	v_cmp_eq_u32_e64 s5, 1, v31
	v_cndmask_b32_e64 v28, v83, v81, s5
	v_cndmask_b32_e64 v29, v82, v80, s5
	v_cmp_eq_u32_e64 s5, 2, v31
	v_cndmask_b32_e64 v28, v28, v79, s5
	v_cndmask_b32_e64 v29, v29, v78, s5
	;; [unrolled: 3-line block ×8, first 2 shown]
	v_cmp_le_f64_e64 s5, 0, v[22:23]
	v_cmp_gt_f64_e64 s6, 0, v[28:29]
	v_cmp_le_f64_e64 s8, 0, v[28:29]
	v_mov_b32_e32 v22, v28
	v_mov_b32_e32 v23, v29
	s_and_b32 s5, s5, s6
	s_and_b32 s6, s7, s8
	v_cndmask_b32_e64 v21, v21, v31, s5
	v_cndmask_b32_e64 v26, v26, v31, s6
	s_or_b32 s10, vcc_lo, s10
	v_cndmask_b32_e64 v25, v25, v27, s5
	v_cndmask_b32_e64 v20, v20, v27, s6
	v_mov_b32_e32 v27, v30
	s_andn2_b32 s5, s11, exec_lo
	s_and_b32 s6, s7, exec_lo
	s_or_b32 s11, s5, s6
	s_andn2_b32 exec_lo, exec_lo, s10
	s_cbranch_execnz .LBB4_22
; %bb.23:
	s_or_b32 exec_lo, exec_lo, s10
	s_and_b32 s51, s11, exec_lo
.LBB4_24:
	s_or_b32 exec_lo, exec_lo, s9
	v_mov_b32_e32 v27, -1
	v_cmp_lt_i32_e64 s5, -1, v25
	v_mov_b32_e32 v22, -1
	v_mov_b32_e32 v23, -1
	s_and_saveexec_b32 s52, s5
	s_cbranch_execz .LBB4_26
; %bb.25:
	buffer_load_dword v22, off, s[0:3], 0 offset:84
	v_cmp_eq_u32_e64 s31, 1, v21
	v_cmp_eq_u32_e64 s33, 1, v25
	v_cmp_eq_u32_e64 s38, 2, v21
	v_cmp_eq_u32_e64 s34, 2, v25
	v_cmp_eq_u32_e64 s42, 3, v21
	v_cndmask_b32_e64 v23, v83, v81, s31
	v_cndmask_b32_e64 v28, v82, v80, s31
	;; [unrolled: 1-line block ×4, first 2 shown]
	v_cmp_eq_u32_e64 s35, 3, v25
	v_cndmask_b32_e64 v23, v23, v79, s38
	v_cndmask_b32_e64 v28, v28, v78, s38
	;; [unrolled: 1-line block ×4, first 2 shown]
	v_cmp_eq_u32_e64 s43, 4, v21
	v_cndmask_b32_e64 v23, v23, v91, s42
	v_cndmask_b32_e64 v28, v28, v90, s42
	;; [unrolled: 1-line block ×3, first 2 shown]
	v_cmp_eq_u32_e64 s36, 4, v25
	v_cndmask_b32_e64 v30, v30, v90, s35
	v_cndmask_b32_e64 v23, v23, v93, s43
	v_cmp_eq_u32_e64 s44, 5, v21
	v_cndmask_b32_e64 v28, v28, v92, s43
	v_cndmask_b32_e64 v29, v29, v93, s36
	v_cmp_eq_u32_e64 s37, 5, v25
	v_cndmask_b32_e64 v30, v30, v92, s36
	v_cndmask_b32_e64 v23, v23, v115, s44
	v_cmp_eq_u32_e64 s45, 6, v21
	v_cndmask_b32_e64 v28, v28, v127, s44
	v_cndmask_b32_e64 v29, v29, v115, s37
	v_cmp_eq_u32_e64 s39, 6, v25
	v_cndmask_b32_e64 v30, v30, v127, s37
	v_cndmask_b32_e64 v23, v23, v114, s45
	v_cmp_eq_u32_e64 s46, 7, v21
	v_cndmask_b32_e64 v28, v28, v126, s45
	v_cndmask_b32_e64 v29, v29, v114, s39
	v_cmp_eq_u32_e64 s40, 7, v25
	v_cndmask_b32_e64 v30, v30, v126, s39
	v_cndmask_b32_e64 v23, v23, v113, s46
	v_cmp_eq_u32_e64 s47, 8, v21
	v_cndmask_b32_e64 v21, v28, v125, s46
	v_cndmask_b32_e64 v31, v29, v113, s40
	v_cmp_eq_u32_e64 s41, 8, v25
	v_cndmask_b32_e64 v30, v30, v125, s40
	v_cndmask_b32_e64 v29, v23, v112, s47
	v_cndmask_b32_e64 v28, v21, v124, s47
	v_cmp_eq_u32_e64 s6, 1, v20
	v_cndmask_b32_e64 v31, v31, v112, s41
	v_cndmask_b32_e64 v30, v30, v124, s41
	v_cmp_eq_u32_e64 s7, 1, v26
	v_add_f64 v[32:33], -v[28:29], 0
	v_cmp_eq_u32_e64 s24, 2, v20
	v_cmp_eq_u32_e64 s8, 2, v26
	v_add_f64 v[34:35], v[30:31], -v[28:29]
	v_cmp_eq_u32_e64 s25, 3, v20
	v_cmp_eq_u32_e64 s18, 3, v26
	;; [unrolled: 1-line block ×12, first 2 shown]
	v_div_scale_f64 v[36:37], null, v[34:35], v[34:35], v[32:33]
	v_rcp_f64_e32 v[38:39], v[36:37]
	v_fma_f64 v[40:41], -v[36:37], v[38:39], 1.0
	v_fma_f64 v[38:39], v[38:39], v[40:41], v[38:39]
	v_fma_f64 v[40:41], -v[36:37], v[38:39], 1.0
	v_fma_f64 v[38:39], v[38:39], v[40:41], v[38:39]
	v_div_scale_f64 v[40:41], vcc_lo, v[32:33], v[34:35], v[32:33]
	v_mul_f64 v[42:43], v[40:41], v[38:39]
	v_fma_f64 v[36:37], -v[36:37], v[42:43], v[40:41]
	v_div_fmas_f64 v[36:37], v[36:37], v[38:39], v[42:43]
	v_div_fixup_f64 v[43:44], v[36:37], v[34:35], v[32:33]
	v_add_f64 v[45:46], -v[43:44], 1.0
	s_waitcnt vmcnt(0)
	v_lshl_add_u32 v21, v22, 2, 0
	v_mul_f64 v[28:29], v[28:29], v[45:46]
	v_cmp_eq_u32_e64 s10, 1, v22
	v_cmp_eq_u32_e64 s9, 0, v22
	;; [unrolled: 1-line block ×3, first 2 shown]
	buffer_load_dword v23, v21, s[0:3], 0 offen offset:40
	v_cmp_eq_u32_e64 s14, 7, v22
	v_cmp_eq_u32_e64 s12, 6, v22
	;; [unrolled: 1-line block ×6, first 2 shown]
	v_fma_f64 v[47:48], v[30:31], v[43:44], v[28:29]
	v_cndmask_b32_e64 v28, v80, v47, s10
	v_cndmask_b32_e64 v21, v82, v47, s9
	v_cndmask_b32_e64 v30, v81, v48, s10
	v_cndmask_b32_e64 v29, v83, v48, s9
	v_cndmask_b32_e64 v38, v124, v47, s11
	v_cndmask_b32_e64 v36, v125, v47, s14
	v_cndmask_b32_e64 v37, v126, v47, s12
	v_cndmask_b32_e64 v34, v127, v47, s15
	v_cndmask_b32_e64 v35, v92, v47, s17
	v_cndmask_b32_e64 v31, v90, v47, s13
	v_cndmask_b32_e64 v32, v78, v47, s16
	v_cndmask_b32_e64 v42, v112, v48, s11
	v_cndmask_b32_e64 v40, v113, v48, s14
	v_cndmask_b32_e64 v41, v114, v48, s12
	v_cndmask_b32_e64 v39, v115, v48, s15
	v_cndmask_b32_e64 v33, v79, v48, s16
	v_cndmask_b32_e64 v47, v29, v30, s6
	v_cndmask_b32_e64 v49, v93, v48, s17
	v_cndmask_b32_e64 v136, v91, v48, s13
	v_cndmask_b32_e64 v48, v21, v28, s6
	v_cndmask_b32_e64 v78, v29, v30, s7
	v_cndmask_b32_e64 v79, v21, v28, s7
	v_cndmask_b32_e64 v47, v47, v33, s24
	v_cndmask_b32_e64 v112, v0, v2, s31
	v_cndmask_b32_e64 v48, v48, v32, s24
	v_cndmask_b32_e64 v78, v78, v33, s8
	v_cndmask_b32_e64 v79, v79, v32, s8
	v_cndmask_b32_e64 v47, v47, v136, s25
	v_cndmask_b32_e64 v112, v112, v4, s38
	v_cndmask_b32_e64 v48, v48, v31, s25
	v_cndmask_b32_e64 v78, v78, v136, s18
	v_cndmask_b32_e64 v79, v79, v31, s18
	v_cndmask_b32_e64 v47, v47, v49, s26
	v_cndmask_b32_e64 v112, v112, v6, s42
	v_cndmask_b32_e64 v48, v48, v35, s26
	v_cndmask_b32_e64 v78, v78, v49, s20
	v_cndmask_b32_e64 v79, v79, v35, s20
	v_cndmask_b32_e64 v47, v47, v39, s27
	v_cndmask_b32_e64 v126, v88, v86, s31
	v_cndmask_b32_e64 v48, v48, v34, s27
	v_cndmask_b32_e64 v78, v78, v39, s19
	v_cndmask_b32_e64 v79, v79, v34, s19
	v_cndmask_b32_e64 v47, v47, v41, s28
	v_cndmask_b32_e64 v125, v89, v87, s31
	v_cndmask_b32_e64 v48, v48, v37, s28
	v_cndmask_b32_e64 v78, v78, v41, s21
	v_cndmask_b32_e64 v79, v79, v37, s21
	v_cndmask_b32_e64 v47, v47, v40, s29
	v_cndmask_b32_e64 v126, v126, v84, s38
	v_cndmask_b32_e64 v20, v48, v36, s29
	v_cndmask_b32_e64 v78, v78, v40, s22
	v_cndmask_b32_e64 v80, v79, v36, s22
	v_cndmask_b32_e64 v48, v47, v42, s30
	v_cndmask_b32_e64 v125, v125, v85, s38
	v_cndmask_b32_e64 v47, v20, v38, s30
	v_cndmask_b32_e64 v79, v78, v42, s23
	v_cndmask_b32_e64 v78, v80, v38, s23
	v_cndmask_b32_e64 v20, v1, v3, s31
	v_cndmask_b32_e64 v125, v125, v101, s42
	v_add_f64 v[80:81], -v[47:48], 0
	v_cndmask_b32_e64 v127, v97, v99, s31
	v_add_f64 v[82:83], v[78:79], -v[47:48]
	v_cndmask_b32_e64 v20, v20, v5, s38
	v_cndmask_b32_e64 v125, v125, v103, s43
	;; [unrolled: 1-line block ×9, first 2 shown]
	v_div_scale_f64 v[90:91], null, v[82:83], v[82:83], v[80:81]
	v_cndmask_b32_e64 v20, v20, v15, s46
	v_rcp_f64_e32 v[92:93], v[90:91]
	v_fma_f64 v[108:109], -v[90:91], v[92:93], 1.0
	v_fma_f64 v[92:93], v[92:93], v[108:109], v[92:93]
	v_cndmask_b32_e64 v108, v112, v8, s43
	v_cndmask_b32_e64 v109, v1, v3, s33
	;; [unrolled: 1-line block ×15, first 2 shown]
	v_fma_f64 v[108:109], -v[90:91], v[92:93], 1.0
	v_cndmask_b32_e64 v20, v20, v10, s37
	v_mul_f64 v[112:113], v[112:113], v[45:46]
	v_cndmask_b32_e64 v114, v114, v13, s39
	v_cndmask_b32_e64 v20, v20, v12, s39
	;; [unrolled: 1-line block ×7, first 2 shown]
	v_fma_f64 v[92:93], v[92:93], v[108:109], v[92:93]
	v_div_scale_f64 v[108:109], vcc_lo, v[80:81], v[82:83], v[80:81]
	v_fma_f64 v[112:113], v[114:115], v[43:44], v[112:113]
	v_cndmask_b32_e64 v115, v20, v85, s34
	v_cndmask_b32_e64 v124, v115, v101, s35
	;; [unrolled: 1-line block ×26, first 2 shown]
	s_waitcnt vmcnt(0)
	v_lshl_add_u32 v114, v23, 2, 0
	buffer_load_dword v20, v114, s[0:3], 0 offen offset:40
	v_mul_f64 v[114:115], v[108:109], v[92:93]
	v_fma_f64 v[90:91], -v[90:91], v[114:115], v[108:109]
	v_cndmask_b32_e64 v108, v124, v120, s44
	v_cndmask_b32_e64 v124, v96, v98, s31
	;; [unrolled: 1-line block ×17, first 2 shown]
	v_div_fmas_f64 v[90:91], v[90:91], v[92:93], v[114:115]
	v_cndmask_b32_e64 v114, v124, v135, s44
	v_mul_f64 v[92:93], v[108:109], v[45:46]
	v_cndmask_b32_e64 v108, v96, v98, s33
	v_cndmask_b32_e64 v109, v125, v95, s34
	;; [unrolled: 1-line block ×18, first 2 shown]
	v_mul_f64 v[45:46], v[108:109], v[45:46]
	v_div_fixup_f64 v[108:109], v[90:91], v[82:83], v[80:81]
	v_cndmask_b32_e64 v12, v12, v135, s37
	v_fma_f64 v[80:81], v[114:115], v[43:44], v[92:93]
	v_cndmask_b32_e64 v6, v124, v129, s39
	v_cmp_eq_u32_e32 vcc_lo, 8, v23
	v_cndmask_b32_e64 v12, v12, v134, s39
	v_cndmask_b32_e64 v0, v6, v131, s40
	;; [unrolled: 1-line block ×5, first 2 shown]
	v_fma_f64 v[4:5], v[12:13], v[43:44], v[45:46]
	v_cndmask_b32_e64 v43, v3, v113, s10
	v_cndmask_b32_e64 v44, v1, v113, s9
	v_add_f64 v[6:7], -v[108:109], 1.0
	v_cndmask_b32_e64 v3, v141, v140, s6
	v_cndmask_b32_e64 v12, v141, v140, s7
	;; [unrolled: 1-line block ×21, first 2 shown]
	v_mul_f64 v[0:1], v[47:48], v[6:7]
	v_cndmask_b32_e64 v47, v132, v4, s14
	v_cndmask_b32_e64 v2, v2, v11, s27
	;; [unrolled: 1-line block ×25, first 2 shown]
	v_fma_f64 v[0:1], v[78:79], v[108:109], v[0:1]
	v_cmp_eq_u32_e64 s11, 5, v23
	v_cndmask_b32_e64 v3, v2, v17, s30
	v_cndmask_b32_e64 v2, v5, v16, s30
	;; [unrolled: 1-line block ×4, first 2 shown]
	v_cmp_eq_u32_e64 s12, 4, v23
	v_cndmask_b32_e64 v85, v85, v81, s16
	v_mul_f64 v[2:3], v[2:3], v[6:7]
	v_cndmask_b32_e64 v4, v4, v11, s19
	v_cndmask_b32_e64 v5, v5, v10, s19
	;; [unrolled: 1-line block ×18, first 2 shown]
	v_cmp_eq_u32_e64 s9, 7, v23
	v_cmp_eq_u32_e64 s10, 6, v23
	;; [unrolled: 1-line block ×3, first 2 shown]
	v_fma_f64 v[34:35], v[4:5], v[108:109], v[2:3]
	v_cndmask_b32_e64 v2, v89, v87, s7
	v_cndmask_b32_e64 v3, v89, v87, s6
	;; [unrolled: 1-line block ×3, first 2 shown]
	v_cmp_eq_u32_e64 s14, 2, v23
	v_cmp_eq_u32_e64 s15, 1, v23
	v_cndmask_b32_e64 v2, v2, v85, s8
	v_cndmask_b32_e64 v3, v3, v85, s24
	;; [unrolled: 1-line block ×3, first 2 shown]
	v_cmp_eq_u32_e64 s16, 0, v23
	v_cndmask_b32_e64 v102, v102, v80, s17
	v_cndmask_b32_e64 v2, v2, v101, s18
	v_cndmask_b32_e32 v112, v42, v1, vcc_lo
	v_cndmask_b32_e64 v113, v40, v1, s9
	v_cndmask_b32_e64 v114, v41, v1, s10
	;; [unrolled: 1-line block ×11, first 2 shown]
	v_cndmask_b32_e32 v124, v38, v0, vcc_lo
	v_cndmask_b32_e64 v125, v36, v0, s9
	v_cndmask_b32_e64 v126, v37, v0, s10
	;; [unrolled: 1-line block ×35, first 2 shown]
	v_mul_f64 v[0:1], v[0:1], v[6:7]
	v_cndmask_b32_e64 v3, v3, v120, s19
	v_cndmask_b32_e64 v4, v4, v48, s28
	;; [unrolled: 1-line block ×11, first 2 shown]
	v_cndmask_b32_e32 v17, v17, v35, vcc_lo
	v_cndmask_b32_e64 v30, v5, v107, s20
	v_cndmask_b32_e64 v3, v2, v130, s30
	;; [unrolled: 1-line block ×6, first 2 shown]
	v_cndmask_b32_e32 v16, v16, v34, vcc_lo
	v_mul_f64 v[28:29], v[2:3], v[6:7]
	v_cndmask_b32_e64 v2, v30, v128, s19
	v_cndmask_b32_e64 v3, v13, v135, s19
	v_fma_f64 v[30:31], v[4:5], v[108:109], v[0:1]
	v_cndmask_b32_e64 v15, v15, v35, s9
	v_cndmask_b32_e64 v14, v14, v34, s9
	;; [unrolled: 1-line block ×18, first 2 shown]
	v_fma_f64 v[28:29], v[0:1], v[108:109], v[28:29]
	v_cndmask_b32_e64 v3, v43, v35, s15
	v_cndmask_b32_e64 v2, v140, v34, s15
	;; [unrolled: 1-line block ×4, first 2 shown]
	v_cndmask_b32_e32 v117, v117, v31, vcc_lo
	v_cndmask_b32_e32 v123, v45, v30, vcc_lo
	v_cndmask_b32_e64 v119, v119, v31, s9
	v_cndmask_b32_e64 v122, v46, v30, s9
	;; [unrolled: 1-line block ×16, first 2 shown]
	v_cndmask_b32_e32 v130, v130, v29, vcc_lo
	v_cndmask_b32_e32 v133, v133, v28, vcc_lo
	v_cndmask_b32_e64 v131, v131, v29, s9
	v_cndmask_b32_e64 v132, v47, v28, s9
	v_cndmask_b32_e64 v129, v129, v29, s10
	v_cndmask_b32_e64 v134, v48, v28, s10
	v_cndmask_b32_e64 v128, v128, v29, s11
	v_cndmask_b32_e64 v135, v135, v28, s11
	v_cndmask_b32_e64 v107, v107, v29, s12
	v_cndmask_b32_e64 v106, v106, v28, s12
	v_cndmask_b32_e64 v105, v105, v29, s13
	v_cndmask_b32_e64 v104, v104, v28, s13
	v_cndmask_b32_e64 v95, v95, v29, s14
	v_cndmask_b32_e64 v94, v94, v28, s14
	v_cndmask_b32_e64 v99, v99, v29, s15
	v_cndmask_b32_e64 v98, v98, v28, s15
	v_cndmask_b32_e64 v97, v97, v29, s16
	v_cndmask_b32_e64 v96, v96, v28, s16
	s_waitcnt vmcnt(0)
	buffer_store_dword v20, off, s[0:3], 0 offset:84
.LBB4_26:
	s_or_b32 exec_lo, exec_lo, s52
	buffer_store_dword v27, off, s[0:3], 0 offset:80
	s_and_saveexec_b32 s6, s4
	s_cbranch_execz .LBB4_35
; %bb.27:
	s_mov_b32 s7, 0
	s_branch .LBB4_29
.LBB4_28:                               ;   in Loop: Header=BB4_29 Depth=1
	s_or_b32 exec_lo, exec_lo, s9
	s_waitcnt vmcnt(0)
	v_cmp_gt_i32_e32 vcc_lo, 0, v20
	v_mov_b32_e32 v24, v20
	s_or_b32 s7, vcc_lo, s7
	s_andn2_b32 exec_lo, exec_lo, s7
	s_cbranch_execz .LBB4_35
.LBB4_29:                               ; =>This Inner Loop Header: Depth=1
	v_lshl_add_u32 v21, v24, 2, 0
	v_cmp_eq_u32_e32 vcc_lo, 1, v24
	s_mov_b32 s8, 0
	s_mov_b32 s9, exec_lo
	buffer_load_dword v20, v21, s[0:3], 0 offen offset:40
	v_cndmask_b32_e32 v27, v83, v81, vcc_lo
	v_cndmask_b32_e32 v28, v82, v80, vcc_lo
	v_cmp_eq_u32_e32 vcc_lo, 2, v24
	v_cndmask_b32_e32 v27, v27, v79, vcc_lo
	v_cndmask_b32_e32 v28, v28, v78, vcc_lo
	v_cmp_eq_u32_e32 vcc_lo, 3, v24
	;; [unrolled: 3-line block ×7, first 2 shown]
	v_cndmask_b32_e32 v28, v27, v112, vcc_lo
	v_cndmask_b32_e32 v27, v29, v124, vcc_lo
	v_cmpx_ngt_f64_e32 0, v[27:28]
	s_xor_b32 s9, exec_lo, s9
	s_cbranch_execnz .LBB4_32
; %bb.30:                               ;   in Loop: Header=BB4_29 Depth=1
	s_or_saveexec_b32 s9, s9
	v_mov_b32_e32 v27, 0x50
	s_xor_b32 exec_lo, exec_lo, s9
	s_cbranch_execnz .LBB4_33
.LBB4_31:                               ;   in Loop: Header=BB4_29 Depth=1
	s_or_b32 exec_lo, exec_lo, s9
	s_and_saveexec_b32 s9, s8
	s_cbranch_execz .LBB4_28
	s_branch .LBB4_34
.LBB4_32:                               ;   in Loop: Header=BB4_29 Depth=1
	buffer_load_dword v21, off, s[0:3], 0 offset:80
	s_waitcnt vmcnt(0)
	v_cmp_eq_u32_e32 vcc_lo, -1, v21
                                        ; implicit-def: $vgpr21
	s_and_b32 s8, vcc_lo, exec_lo
	s_or_saveexec_b32 s9, s9
	v_mov_b32_e32 v27, 0x50
	s_xor_b32 exec_lo, exec_lo, s9
	s_cbranch_execz .LBB4_31
.LBB4_33:                               ;   in Loop: Header=BB4_29 Depth=1
	buffer_load_dword v28, off, s[0:3], 0 offset:84
	v_mov_b32_e32 v27, 0x54
	s_or_b32 s8, s8, exec_lo
	s_waitcnt vmcnt(0)
	buffer_store_dword v28, v21, s[0:3], 0 offen offset:40
	s_or_b32 exec_lo, exec_lo, s9
	s_and_saveexec_b32 s9, s8
	s_cbranch_execz .LBB4_28
.LBB4_34:                               ;   in Loop: Header=BB4_29 Depth=1
	buffer_store_dword v24, v27, s[0:3], 0 offen
	s_branch .LBB4_28
.LBB4_35:
	s_or_b32 exec_lo, exec_lo, s6
	s_and_saveexec_b32 s6, s5
	s_cbranch_execz .LBB4_37
; %bb.36:
	v_cmp_gt_f64_e32 vcc_lo, 0, v[18:19]
	v_lshl_add_u32 v18, v25, 2, 0
	v_lshl_add_u32 v19, v22, 2, 0
	v_lshl_add_u32 v21, v23, 2, 0
	s_and_b32 s4, s4, vcc_lo
	s_or_b32 s4, s51, s4
	v_cndmask_b32_e64 v20, v26, -1, s4
	buffer_store_dword v22, v18, s[0:3], 0 offen offset:40
	buffer_store_dword v23, v19, s[0:3], 0 offen offset:40
	;; [unrolled: 1-line block ×3, first 2 shown]
.LBB4_37:
	s_or_b32 exec_lo, exec_lo, s6
	buffer_load_dword v24, off, s[0:3], 0 offset:80
	v_mov_b32_e32 v25, -1
	v_mov_b32_e32 v26, -1
	;; [unrolled: 1-line block ×4, first 2 shown]
	s_mov_b32 s51, 0
	v_mov_b32_e32 v21, -1
	v_mov_b32_e32 v22, -1
	s_waitcnt vmcnt(0)
	v_cmp_eq_u32_e32 vcc_lo, 1, v24
	v_cmp_eq_u32_e64 s4, 7, v24
	v_cndmask_b32_e32 v18, v1, v3, vcc_lo
	v_cndmask_b32_e32 v19, v0, v2, vcc_lo
	v_cmp_eq_u32_e32 vcc_lo, 2, v24
	v_cndmask_b32_e32 v18, v18, v5, vcc_lo
	v_cndmask_b32_e32 v19, v19, v4, vcc_lo
	v_cmp_eq_u32_e32 vcc_lo, 3, v24
	;; [unrolled: 3-line block ×6, first 2 shown]
	v_cndmask_b32_e64 v18, v18, v15, s4
	v_cndmask_b32_e64 v23, v19, v14, s4
	v_cmp_lt_i32_e64 s4, -1, v24
	v_cndmask_b32_e32 v19, v18, v17, vcc_lo
	v_cndmask_b32_e32 v18, v23, v16, vcc_lo
	s_and_saveexec_b32 s9, s4
	s_cbranch_execz .LBB4_41
; %bb.38:
	v_mov_b32_e32 v23, v19
	v_mov_b32_e32 v25, -1
	v_mov_b32_e32 v27, v24
	v_mov_b32_e32 v20, -1
	v_mov_b32_e32 v21, -1
	;; [unrolled: 1-line block ×3, first 2 shown]
	v_mov_b32_e32 v22, v18
	s_mov_b32 s10, 0
                                        ; implicit-def: $sgpr11
.LBB4_39:                               ; =>This Inner Loop Header: Depth=1
	v_lshl_add_u32 v28, v27, 2, 0
	v_cmp_gt_f64_e64 s7, 0, v[22:23]
	buffer_load_dword v30, v28, s[0:3], 0 offen offset:40
	s_waitcnt vmcnt(0)
	v_cmp_gt_i32_e32 vcc_lo, 0, v30
	v_cndmask_b32_e32 v31, v30, v24, vcc_lo
	v_cmp_eq_u32_e64 s5, 1, v31
	v_cndmask_b32_e64 v28, v1, v3, s5
	v_cndmask_b32_e64 v29, v0, v2, s5
	v_cmp_eq_u32_e64 s5, 2, v31
	v_cndmask_b32_e64 v28, v28, v5, s5
	v_cndmask_b32_e64 v29, v29, v4, s5
	;; [unrolled: 3-line block ×8, first 2 shown]
	v_cmp_le_f64_e64 s5, 0, v[22:23]
	v_cmp_gt_f64_e64 s6, 0, v[28:29]
	v_cmp_le_f64_e64 s8, 0, v[28:29]
	v_mov_b32_e32 v22, v28
	v_mov_b32_e32 v23, v29
	s_and_b32 s5, s5, s6
	s_and_b32 s6, s7, s8
	v_cndmask_b32_e64 v21, v21, v31, s5
	v_cndmask_b32_e64 v26, v26, v31, s6
	s_or_b32 s10, vcc_lo, s10
	v_cndmask_b32_e64 v25, v25, v27, s5
	v_cndmask_b32_e64 v20, v20, v27, s6
	v_mov_b32_e32 v27, v30
	s_andn2_b32 s5, s11, exec_lo
	s_and_b32 s6, s7, exec_lo
	s_or_b32 s11, s5, s6
	s_andn2_b32 exec_lo, exec_lo, s10
	s_cbranch_execnz .LBB4_39
; %bb.40:
	s_or_b32 exec_lo, exec_lo, s10
	s_and_b32 s51, s11, exec_lo
.LBB4_41:
	s_or_b32 exec_lo, exec_lo, s9
	v_mov_b32_e32 v27, -1
	v_cmp_lt_i32_e64 s5, -1, v25
	v_mov_b32_e32 v22, -1
	v_mov_b32_e32 v23, -1
	s_and_saveexec_b32 s52, s5
	s_cbranch_execz .LBB4_43
; %bb.42:
	buffer_load_dword v22, off, s[0:3], 0 offset:84
	v_cmp_eq_u32_e64 s11, 1, v21
	v_cmp_eq_u32_e64 s16, 1, v25
	;; [unrolled: 1-line block ×5, first 2 shown]
	v_cndmask_b32_e64 v23, v1, v3, s11
	v_cndmask_b32_e64 v28, v0, v2, s11
	;; [unrolled: 1-line block ×4, first 2 shown]
	v_cmp_eq_u32_e64 s12, 3, v25
	v_cndmask_b32_e64 v23, v23, v5, s28
	v_cndmask_b32_e64 v28, v28, v4, s28
	;; [unrolled: 1-line block ×4, first 2 shown]
	v_cmp_eq_u32_e64 s40, 4, v21
	v_cndmask_b32_e64 v23, v23, v7, s38
	v_cndmask_b32_e64 v28, v28, v6, s38
	;; [unrolled: 1-line block ×3, first 2 shown]
	v_cmp_eq_u32_e64 s13, 4, v25
	v_cndmask_b32_e64 v30, v30, v6, s12
	v_cndmask_b32_e64 v23, v23, v9, s40
	v_cmp_eq_u32_e64 s42, 5, v21
	v_cndmask_b32_e64 v28, v28, v8, s40
	v_cndmask_b32_e64 v29, v29, v9, s13
	;; [unrolled: 3-line block ×9, first 2 shown]
	v_cndmask_b32_e64 v28, v21, v16, s22
	v_cmp_eq_u32_e64 s9, 1, v20
	v_cndmask_b32_e64 v31, v31, v17, s8
	v_cndmask_b32_e64 v30, v30, v16, s8
	v_cmp_eq_u32_e64 s14, 1, v26
	v_add_f64 v[32:33], -v[28:29], 0
	v_cmp_eq_u32_e64 s27, 2, v20
	v_cmp_eq_u32_e64 s15, 2, v26
	v_add_f64 v[34:35], v[30:31], -v[28:29]
	v_cmp_eq_u32_e64 s35, 3, v20
	v_cmp_eq_u32_e64 s20, 3, v26
	;; [unrolled: 1-line block ×12, first 2 shown]
	v_div_scale_f64 v[36:37], null, v[34:35], v[34:35], v[32:33]
	v_rcp_f64_e32 v[38:39], v[36:37]
	v_fma_f64 v[40:41], -v[36:37], v[38:39], 1.0
	v_fma_f64 v[38:39], v[38:39], v[40:41], v[38:39]
	v_fma_f64 v[40:41], -v[36:37], v[38:39], 1.0
	v_fma_f64 v[38:39], v[38:39], v[40:41], v[38:39]
	v_div_scale_f64 v[40:41], vcc_lo, v[32:33], v[34:35], v[32:33]
	v_mul_f64 v[42:43], v[40:41], v[38:39]
	v_fma_f64 v[36:37], -v[36:37], v[42:43], v[40:41]
	v_div_fmas_f64 v[36:37], v[36:37], v[38:39], v[42:43]
	v_cndmask_b32_e64 v38, v82, v80, s16
	v_cndmask_b32_e64 v38, v38, v78, s17
	;; [unrolled: 1-line block ×3, first 2 shown]
	v_div_fixup_f64 v[32:33], v[36:37], v[34:35], v[32:33]
	v_cndmask_b32_e64 v34, v82, v80, s11
	v_cndmask_b32_e64 v37, v83, v81, s16
	;; [unrolled: 1-line block ×9, first 2 shown]
	v_add_f64 v[34:35], -v[32:33], 1.0
	v_cndmask_b32_e64 v36, v36, v126, s18
	v_cndmask_b32_e64 v36, v36, v125, s19
	;; [unrolled: 1-line block ×3, first 2 shown]
	s_waitcnt vmcnt(0)
	v_lshl_add_u32 v21, v22, 2, 0
	v_mul_f64 v[28:29], v[28:29], v[34:35]
	v_cmp_eq_u32_e64 s33, 1, v22
	v_cmp_eq_u32_e64 s34, 0, v22
	;; [unrolled: 1-line block ×3, first 2 shown]
	buffer_load_dword v23, v21, s[0:3], 0 offen offset:40
	v_cndmask_b32_e64 v21, v83, v81, s11
	v_cmp_eq_u32_e64 s45, 7, v22
	v_cmp_eq_u32_e64 s46, 6, v22
	;; [unrolled: 1-line block ×4, first 2 shown]
	v_cndmask_b32_e64 v21, v21, v79, s28
	v_cmp_eq_u32_e64 s30, 3, v22
	v_cmp_eq_u32_e64 s31, 2, v22
	v_cndmask_b32_e64 v21, v21, v91, s38
	v_cndmask_b32_e64 v21, v21, v93, s40
	;; [unrolled: 1-line block ×8, first 2 shown]
	v_mul_f64 v[36:37], v[36:37], v[34:35]
	v_cndmask_b32_e64 v21, v21, v127, s10
	v_cndmask_b32_e64 v38, v38, v114, s6
	;; [unrolled: 1-line block ×7, first 2 shown]
	v_fma_f64 v[36:37], v[38:39], v[32:33], v[36:37]
	v_fma_f64 v[38:39], v[30:31], v[32:33], v[28:29]
	v_cndmask_b32_e64 v136, v124, v36, s44
	v_cndmask_b32_e64 v2, v2, v38, s33
	;; [unrolled: 1-line block ×68, first 2 shown]
	v_add_f64 v[42:43], -v[38:39], 0
	v_cndmask_b32_e64 v82, v114, v37, s46
	v_add_f64 v[44:45], v[40:41], -v[38:39]
	v_cndmask_b32_e64 v20, v20, v85, s28
	v_cndmask_b32_e64 v31, v31, v100, s38
	;; [unrolled: 1-line block ×12, first 2 shown]
	v_div_scale_f64 v[46:47], null, v[44:45], v[44:45], v[42:43]
	v_cndmask_b32_e64 v31, v31, v122, s19
	v_cndmask_b32_e64 v20, v20, v119, s19
	v_cndmask_b32_e64 v126, v31, v123, s22
	v_cndmask_b32_e64 v31, v78, v102, s13
	v_cndmask_b32_e64 v127, v20, v117, s22
	v_cndmask_b32_e64 v78, v112, v37, s44
	v_cndmask_b32_e64 v31, v31, v120, s10
	v_mul_f64 v[126:127], v[126:127], v[34:35]
	v_cndmask_b32_e64 v31, v31, v121, s6
	v_rcp_f64_e32 v[48:49], v[46:47]
	v_cndmask_b32_e64 v31, v31, v122, s7
	v_fma_f64 v[108:109], -v[46:47], v[48:49], 1.0
	v_fma_f64 v[48:49], v[48:49], v[108:109], v[48:49]
	v_fma_f64 v[108:109], -v[46:47], v[48:49], 1.0
	v_fma_f64 v[48:49], v[48:49], v[108:109], v[48:49]
	v_div_scale_f64 v[108:109], vcc_lo, v[42:43], v[44:45], v[42:43]
	v_mul_f64 v[124:125], v[108:109], v[48:49]
	s_waitcnt vmcnt(0)
	v_lshl_add_u32 v36, v23, 2, 0
	buffer_load_dword v140, v36, s[0:3], 0 offen offset:40
	v_cndmask_b32_e64 v36, v89, v87, s16
	v_cndmask_b32_e64 v36, v36, v85, s17
	v_fma_f64 v[46:47], -v[46:47], v[124:125], v[108:109]
	v_cndmask_b32_e64 v108, v31, v123, s8
	v_cndmask_b32_e64 v36, v36, v101, s12
	;; [unrolled: 1-line block ×6, first 2 shown]
	v_cmp_eq_u32_e64 s11, 3, v23
	v_cndmask_b32_e64 v20, v20, v118, s10
	v_cndmask_b32_e64 v36, v36, v94, s28
	;; [unrolled: 1-line block ×6, first 2 shown]
	v_div_fmas_f64 v[46:47], v[46:47], v[48:49], v[124:125]
	v_cndmask_b32_e64 v20, v20, v119, s7
	v_cndmask_b32_e64 v48, v36, v106, s40
	;; [unrolled: 1-line block ×7, first 2 shown]
	v_cmp_eq_u32_e32 vcc_lo, 8, v23
	v_cmp_eq_u32_e64 s16, 0, v23
	v_cndmask_b32_e64 v31, v31, v129, s18
	v_fma_f64 v[108:109], v[108:109], v[32:33], v[126:127]
	v_cndmask_b32_e64 v20, v20, v95, s17
	v_cndmask_b32_e64 v31, v31, v131, s19
	;; [unrolled: 1-line block ×3, first 2 shown]
	v_div_fixup_f64 v[36:37], v[46:47], v[44:45], v[42:43]
	v_cndmask_b32_e64 v20, v20, v107, s13
	v_cndmask_b32_e64 v42, v48, v135, s42
	;; [unrolled: 1-line block ×23, first 2 shown]
	v_mul_f64 v[34:35], v[42:43], v[34:35]
	v_add_f64 v[45:46], -v[36:37], 1.0
	v_cndmask_b32_e64 v31, v31, v139, s37
	v_cndmask_b32_e64 v20, v20, v90, s37
	;; [unrolled: 1-line block ×20, first 2 shown]
	v_fma_f64 v[31:32], v[43:44], v[32:33], v[34:35]
	v_mul_f64 v[33:34], v[47:48], v[45:46]
	v_cndmask_b32_e64 v20, v20, v90, s21
	v_cndmask_b32_e64 v35, v42, v139, s21
	;; [unrolled: 1-line block ×7, first 2 shown]
	v_cmp_eq_u32_e64 s8, 5, v23
	v_cmp_eq_u32_e64 s12, 2, v23
	v_cndmask_b32_e64 v47, v84, v108, s31
	v_cndmask_b32_e64 v20, v20, v80, s25
	;; [unrolled: 1-line block ×3, first 2 shown]
	v_cmp_eq_u32_e64 s6, 7, v23
	v_cmp_eq_u32_e64 s13, 1, v23
	v_cndmask_b32_e64 v44, v100, v108, s30
	v_cndmask_b32_e64 v43, v20, v78, s26
	v_cndmask_b32_e64 v42, v35, v136, s26
	v_cndmask_b32_e64 v20, v89, v87, s14
	v_cndmask_b32_e64 v35, v101, v109, s30
	v_cndmask_b32_e64 v103, v103, v109, s29
	v_cndmask_b32_e64 v123, v123, v108, s44
	v_fma_f64 v[33:34], v[42:43], v[36:37], v[33:34]
	v_cndmask_b32_e64 v20, v20, v85, s15
	v_cndmask_b32_e64 v122, v122, v108, s45
	;; [unrolled: 1-line block ×7, first 2 shown]
	v_cmp_eq_u32_e64 s7, 6, v23
	v_cndmask_b32_e64 v100, v116, v109, s46
	v_cndmask_b32_e64 v98, v98, v31, s33
	;; [unrolled: 1-line block ×8, first 2 shown]
	v_mul_f64 v[38:39], v[38:39], v[45:46]
	v_cndmask_b32_e64 v95, v95, v32, s31
	v_cmp_eq_u32_e64 s10, 4, v23
	v_cndmask_b32_e64 v104, v104, v31, s30
	v_cndmask_b32_e64 v105, v105, v32, s30
	v_cndmask_b32_e32 v112, v78, v34, vcc_lo
	v_cndmask_b32_e64 v115, v90, v34, s8
	v_cndmask_b32_e64 v90, v29, v33, s11
	;; [unrolled: 1-line block ×12, first 2 shown]
	v_cndmask_b32_e32 v124, v136, v33, vcc_lo
	v_cndmask_b32_e64 v28, v28, v35, s35
	v_cndmask_b32_e64 v29, v29, v44, s35
	;; [unrolled: 1-line block ×48, first 2 shown]
	v_fma_f64 v[31:32], v[40:41], v[36:37], v[38:39]
	v_cndmask_b32_e64 v33, v97, v99, s14
	v_cndmask_b32_e64 v38, v96, v98, s14
	v_mul_f64 v[20:21], v[20:21], v[45:46]
	v_cndmask_b32_e64 v29, v29, v120, s21
	v_cndmask_b32_e64 v28, v28, v129, s39
	;; [unrolled: 1-line block ×17, first 2 shown]
	v_mul_f64 v[28:29], v[28:29], v[45:46]
	v_cndmask_b32_e64 v30, v30, v128, s21
	v_cndmask_b32_e64 v38, v38, v135, s21
	v_cndmask_b32_e32 v17, v17, v32, vcc_lo
	v_fma_f64 v[20:21], v[33:34], v[36:37], v[20:21]
	v_cndmask_b32_e32 v16, v16, v31, vcc_lo
	v_cndmask_b32_e64 v30, v30, v129, s24
	v_cndmask_b32_e64 v33, v38, v109, s24
	;; [unrolled: 1-line block ×16, first 2 shown]
	v_fma_f64 v[28:29], v[33:34], v[36:37], v[28:29]
	v_cndmask_b32_e64 v5, v5, v32, s12
	v_cndmask_b32_e64 v4, v4, v31, s12
	;; [unrolled: 1-line block ×6, first 2 shown]
	v_cndmask_b32_e32 v117, v84, v21, vcc_lo
	v_cndmask_b32_e32 v123, v123, v20, vcc_lo
	v_cndmask_b32_e64 v119, v86, v21, s6
	v_cndmask_b32_e64 v122, v122, v20, s6
	;; [unrolled: 1-line block ×16, first 2 shown]
	v_cndmask_b32_e32 v130, v130, v29, vcc_lo
	v_cndmask_b32_e32 v133, v42, v28, vcc_lo
	v_cndmask_b32_e64 v131, v131, v29, s6
	v_cndmask_b32_e64 v132, v43, v28, s6
	;; [unrolled: 1-line block ×16, first 2 shown]
	s_waitcnt vmcnt(0)
	buffer_store_dword v140, off, s[0:3], 0 offset:84
.LBB4_43:
	s_or_b32 exec_lo, exec_lo, s52
	buffer_store_dword v27, off, s[0:3], 0 offset:80
	s_and_saveexec_b32 s6, s4
	s_cbranch_execz .LBB4_52
; %bb.44:
	s_mov_b32 s7, 0
	s_branch .LBB4_46
.LBB4_45:                               ;   in Loop: Header=BB4_46 Depth=1
	s_or_b32 exec_lo, exec_lo, s9
	s_waitcnt vmcnt(0)
	v_cmp_gt_i32_e32 vcc_lo, 0, v20
	v_mov_b32_e32 v24, v20
	s_or_b32 s7, vcc_lo, s7
	s_andn2_b32 exec_lo, exec_lo, s7
	s_cbranch_execz .LBB4_52
.LBB4_46:                               ; =>This Inner Loop Header: Depth=1
	v_lshl_add_u32 v21, v24, 2, 0
	v_cmp_eq_u32_e32 vcc_lo, 1, v24
	s_mov_b32 s8, 0
	s_mov_b32 s9, exec_lo
	buffer_load_dword v20, v21, s[0:3], 0 offen offset:40
	v_cndmask_b32_e32 v27, v1, v3, vcc_lo
	v_cndmask_b32_e32 v28, v0, v2, vcc_lo
	v_cmp_eq_u32_e32 vcc_lo, 2, v24
	v_cndmask_b32_e32 v27, v27, v5, vcc_lo
	v_cndmask_b32_e32 v28, v28, v4, vcc_lo
	v_cmp_eq_u32_e32 vcc_lo, 3, v24
	;; [unrolled: 3-line block ×7, first 2 shown]
	v_cndmask_b32_e32 v28, v27, v17, vcc_lo
	v_cndmask_b32_e32 v27, v29, v16, vcc_lo
	v_cmpx_ngt_f64_e32 0, v[27:28]
	s_xor_b32 s9, exec_lo, s9
	s_cbranch_execnz .LBB4_49
; %bb.47:                               ;   in Loop: Header=BB4_46 Depth=1
	s_or_saveexec_b32 s9, s9
	v_mov_b32_e32 v27, 0x50
	s_xor_b32 exec_lo, exec_lo, s9
	s_cbranch_execnz .LBB4_50
.LBB4_48:                               ;   in Loop: Header=BB4_46 Depth=1
	s_or_b32 exec_lo, exec_lo, s9
	s_and_saveexec_b32 s9, s8
	s_cbranch_execz .LBB4_45
	s_branch .LBB4_51
.LBB4_49:                               ;   in Loop: Header=BB4_46 Depth=1
	buffer_load_dword v21, off, s[0:3], 0 offset:80
	s_waitcnt vmcnt(0)
	v_cmp_eq_u32_e32 vcc_lo, -1, v21
                                        ; implicit-def: $vgpr21
	s_and_b32 s8, vcc_lo, exec_lo
	s_or_saveexec_b32 s9, s9
	v_mov_b32_e32 v27, 0x50
	s_xor_b32 exec_lo, exec_lo, s9
	s_cbranch_execz .LBB4_48
.LBB4_50:                               ;   in Loop: Header=BB4_46 Depth=1
	buffer_load_dword v28, off, s[0:3], 0 offset:84
	v_mov_b32_e32 v27, 0x54
	s_or_b32 s8, s8, exec_lo
	s_waitcnt vmcnt(0)
	buffer_store_dword v28, v21, s[0:3], 0 offen offset:40
	s_or_b32 exec_lo, exec_lo, s9
	s_and_saveexec_b32 s9, s8
	s_cbranch_execz .LBB4_45
.LBB4_51:                               ;   in Loop: Header=BB4_46 Depth=1
	buffer_store_dword v24, v27, s[0:3], 0 offen
	s_branch .LBB4_45
.LBB4_52:
	s_or_b32 exec_lo, exec_lo, s6
	s_and_saveexec_b32 s6, s5
	s_cbranch_execz .LBB4_54
; %bb.53:
	v_cmp_gt_f64_e32 vcc_lo, 0, v[18:19]
	v_lshl_add_u32 v18, v25, 2, 0
	v_lshl_add_u32 v19, v22, 2, 0
	v_lshl_add_u32 v21, v23, 2, 0
	s_and_b32 s4, s4, vcc_lo
	s_or_b32 s4, s51, s4
	v_cndmask_b32_e64 v20, v26, -1, s4
	buffer_store_dword v22, v18, s[0:3], 0 offen offset:40
	buffer_store_dword v23, v19, s[0:3], 0 offen offset:40
	;; [unrolled: 1-line block ×3, first 2 shown]
.LBB4_54:
	s_or_b32 exec_lo, exec_lo, s6
	buffer_load_dword v24, off, s[0:3], 0 offset:80
	v_mov_b32_e32 v25, -1
	v_mov_b32_e32 v26, -1
	v_mov_b32_e32 v20, -1
	v_mov_b32_e32 v21, -1
	s_mov_b32 s51, 0
	v_mov_b32_e32 v21, -1
	v_mov_b32_e32 v22, -1
	s_waitcnt vmcnt(0)
	v_cmp_eq_u32_e32 vcc_lo, 1, v24
	v_cmp_eq_u32_e64 s4, 7, v24
	v_cndmask_b32_e32 v18, v89, v87, vcc_lo
	v_cndmask_b32_e32 v19, v88, v86, vcc_lo
	v_cmp_eq_u32_e32 vcc_lo, 2, v24
	v_cndmask_b32_e32 v18, v18, v85, vcc_lo
	v_cndmask_b32_e32 v19, v19, v84, vcc_lo
	v_cmp_eq_u32_e32 vcc_lo, 3, v24
	;; [unrolled: 3-line block ×6, first 2 shown]
	v_cndmask_b32_e64 v18, v18, v119, s4
	v_cndmask_b32_e64 v23, v19, v122, s4
	v_cmp_lt_i32_e64 s4, -1, v24
	v_cndmask_b32_e32 v19, v18, v117, vcc_lo
	v_cndmask_b32_e32 v18, v23, v123, vcc_lo
	s_and_saveexec_b32 s9, s4
	s_cbranch_execz .LBB4_58
; %bb.55:
	v_mov_b32_e32 v23, v19
	v_mov_b32_e32 v25, -1
	v_mov_b32_e32 v27, v24
	v_mov_b32_e32 v20, -1
	v_mov_b32_e32 v21, -1
	;; [unrolled: 1-line block ×3, first 2 shown]
	v_mov_b32_e32 v22, v18
	s_mov_b32 s10, 0
                                        ; implicit-def: $sgpr11
.LBB4_56:                               ; =>This Inner Loop Header: Depth=1
	v_lshl_add_u32 v28, v27, 2, 0
	v_cmp_gt_f64_e64 s7, 0, v[22:23]
	buffer_load_dword v30, v28, s[0:3], 0 offen offset:40
	s_waitcnt vmcnt(0)
	v_cmp_gt_i32_e32 vcc_lo, 0, v30
	v_cndmask_b32_e32 v31, v30, v24, vcc_lo
	v_cmp_eq_u32_e64 s5, 1, v31
	v_cndmask_b32_e64 v28, v89, v87, s5
	v_cndmask_b32_e64 v29, v88, v86, s5
	v_cmp_eq_u32_e64 s5, 2, v31
	v_cndmask_b32_e64 v28, v28, v85, s5
	v_cndmask_b32_e64 v29, v29, v84, s5
	;; [unrolled: 3-line block ×8, first 2 shown]
	v_cmp_le_f64_e64 s5, 0, v[22:23]
	v_cmp_gt_f64_e64 s6, 0, v[28:29]
	v_cmp_le_f64_e64 s8, 0, v[28:29]
	v_mov_b32_e32 v22, v28
	v_mov_b32_e32 v23, v29
	s_and_b32 s5, s5, s6
	s_and_b32 s6, s7, s8
	v_cndmask_b32_e64 v21, v21, v31, s5
	v_cndmask_b32_e64 v26, v26, v31, s6
	s_or_b32 s10, vcc_lo, s10
	v_cndmask_b32_e64 v25, v25, v27, s5
	v_cndmask_b32_e64 v20, v20, v27, s6
	v_mov_b32_e32 v27, v30
	s_andn2_b32 s5, s11, exec_lo
	s_and_b32 s6, s7, exec_lo
	s_or_b32 s11, s5, s6
	s_andn2_b32 exec_lo, exec_lo, s10
	s_cbranch_execnz .LBB4_56
; %bb.57:
	s_or_b32 exec_lo, exec_lo, s10
	s_and_b32 s51, s11, exec_lo
.LBB4_58:
	s_or_b32 exec_lo, exec_lo, s9
	v_mov_b32_e32 v27, -1
	v_cmp_lt_i32_e64 s5, -1, v25
	v_mov_b32_e32 v22, -1
	v_mov_b32_e32 v23, -1
	s_and_saveexec_b32 s52, s5
	s_cbranch_execz .LBB4_60
; %bb.59:
	buffer_load_dword v22, off, s[0:3], 0 offset:84
	v_cmp_eq_u32_e64 s15, 1, v21
	v_cmp_eq_u32_e64 s16, 1, v25
	;; [unrolled: 1-line block ×5, first 2 shown]
	v_cndmask_b32_e64 v23, v89, v87, s15
	v_cndmask_b32_e64 v28, v89, v87, s16
	;; [unrolled: 1-line block ×4, first 2 shown]
	v_cmp_eq_u32_e64 s9, 3, v25
	v_cndmask_b32_e64 v23, v23, v85, s27
	v_cndmask_b32_e64 v28, v28, v85, s17
	;; [unrolled: 1-line block ×4, first 2 shown]
	v_cmp_eq_u32_e64 s36, 4, v21
	v_cndmask_b32_e64 v23, v23, v101, s35
	v_cndmask_b32_e64 v28, v28, v101, s9
	;; [unrolled: 1-line block ×3, first 2 shown]
	v_cmp_eq_u32_e64 s10, 4, v25
	v_cndmask_b32_e64 v30, v30, v100, s9
	v_cndmask_b32_e64 v23, v23, v103, s36
	v_cmp_eq_u32_e64 s37, 5, v21
	v_cndmask_b32_e64 v29, v29, v102, s36
	v_cndmask_b32_e64 v28, v28, v103, s10
	;; [unrolled: 3-line block ×5, first 2 shown]
	v_cmp_eq_u32_e64 s6, 7, v25
	v_cmp_eq_u32_e64 s26, 7, v21
	v_cndmask_b32_e64 v28, v28, v116, s12
	v_cndmask_b32_e64 v29, v29, v121, s38
	;; [unrolled: 1-line block ×3, first 2 shown]
	v_cmp_eq_u32_e64 s24, 8, v21
	v_cndmask_b32_e64 v23, v23, v119, s26
	v_cndmask_b32_e64 v21, v28, v119, s6
	v_cmp_eq_u32_e64 s7, 8, v25
	v_cndmask_b32_e64 v28, v29, v122, s26
	v_cndmask_b32_e64 v30, v30, v122, s6
	;; [unrolled: 1-line block ×3, first 2 shown]
	v_cmp_eq_u32_e64 s8, 1, v20
	v_cndmask_b32_e64 v31, v21, v117, s7
	v_cndmask_b32_e64 v28, v28, v123, s24
	;; [unrolled: 1-line block ×3, first 2 shown]
	v_cmp_eq_u32_e64 s14, 1, v26
	v_cmp_eq_u32_e64 s25, 2, v20
	;; [unrolled: 1-line block ×3, first 2 shown]
	v_add_f64 v[32:33], -v[28:29], 0
	v_add_f64 v[34:35], v[30:31], -v[28:29]
	v_cmp_eq_u32_e64 s28, 3, v20
	v_cmp_eq_u32_e64 s18, 3, v26
	v_cmp_eq_u32_e64 s29, 4, v20
	v_cmp_eq_u32_e64 s20, 4, v26
	v_cmp_eq_u32_e64 s30, 5, v20
	v_cmp_eq_u32_e64 s19, 5, v26
	v_cmp_eq_u32_e64 s31, 6, v20
	v_cmp_eq_u32_e64 s21, 6, v26
	v_cmp_eq_u32_e64 s33, 7, v20
	v_cmp_eq_u32_e64 s22, 7, v26
	v_cmp_eq_u32_e64 s34, 8, v20
	v_cmp_eq_u32_e64 s23, 8, v26
	v_div_scale_f64 v[36:37], null, v[34:35], v[34:35], v[32:33]
	v_div_scale_f64 v[42:43], vcc_lo, v[32:33], v[34:35], v[32:33]
	v_rcp_f64_e32 v[38:39], v[36:37]
	v_fma_f64 v[40:41], -v[36:37], v[38:39], 1.0
	v_fma_f64 v[38:39], v[38:39], v[40:41], v[38:39]
	v_fma_f64 v[40:41], -v[36:37], v[38:39], 1.0
	v_fma_f64 v[38:39], v[38:39], v[40:41], v[38:39]
	v_mul_f64 v[40:41], v[42:43], v[38:39]
	v_fma_f64 v[36:37], -v[36:37], v[40:41], v[42:43]
	v_div_fmas_f64 v[36:37], v[36:37], v[38:39], v[40:41]
	v_div_fixup_f64 v[108:109], v[36:37], v[34:35], v[32:33]
	v_cndmask_b32_e64 v32, v82, v80, s15
	v_cndmask_b32_e64 v33, v83, v81, s16
	;; [unrolled: 1-line block ×12, first 2 shown]
	v_add_f64 v[136:137], -v[108:109], 1.0
	v_cndmask_b32_e64 v32, v32, v126, s38
	v_cndmask_b32_e64 v32, v32, v125, s26
	;; [unrolled: 1-line block ×3, first 2 shown]
	v_mul_f64 v[28:29], v[28:29], v[136:137]
	s_waitcnt vmcnt(0)
	v_lshl_add_u32 v21, v22, 2, 0
	v_cmp_eq_u32_e64 s44, 1, v22
	v_cmp_eq_u32_e64 s40, 0, v22
	;; [unrolled: 1-line block ×4, first 2 shown]
	buffer_load_dword v23, v21, s[0:3], 0 offen offset:40
	v_cndmask_b32_e64 v21, v83, v81, s15
	v_cmp_eq_u32_e64 s47, 6, v22
	v_cmp_eq_u32_e64 s39, 5, v22
	v_cmp_eq_u32_e64 s41, 4, v22
	v_cmp_eq_u32_e64 s43, 3, v22
	v_cndmask_b32_e64 v21, v21, v79, s27
	v_cmp_eq_u32_e64 s42, 2, v22
	v_cndmask_b32_e64 v21, v21, v91, s35
	v_fma_f64 v[138:139], v[30:31], v[108:109], v[28:29]
	v_cndmask_b32_e64 v21, v21, v93, s36
	v_cndmask_b32_e64 v21, v21, v115, s37
	;; [unrolled: 1-line block ×9, first 2 shown]
	v_mul_f64 v[32:33], v[32:33], v[136:137]
	v_cndmask_b32_e64 v21, v21, v127, s11
	v_cndmask_b32_e64 v34, v34, v114, s12
	;; [unrolled: 1-line block ×18, first 2 shown]
	v_fma_f64 v[48:49], v[34:35], v[108:109], v[32:33]
	v_cndmask_b32_e64 v84, v21, v28, s14
	v_cndmask_b32_e64 v32, v120, v138, s39
	;; [unrolled: 1-line block ×52, first 2 shown]
	v_add_f64 v[88:89], -v[84:85], 0
	v_cndmask_b32_e64 v82, v1, v3, s16
	v_add_f64 v[100:101], v[86:87], -v[84:85]
	v_cndmask_b32_e64 v20, v20, v5, s27
	v_cndmask_b32_e64 v78, v78, v4, s27
	;; [unrolled: 1-line block ×12, first 2 shown]
	v_div_scale_f64 v[102:103], null, v[100:101], v[100:101], v[88:89]
	v_cndmask_b32_e64 v78, v78, v12, s38
	v_cndmask_b32_e64 v20, v20, v15, s26
	v_cndmask_b32_e64 v78, v78, v14, s26
	v_cndmask_b32_e64 v121, v20, v17, s24
	v_cndmask_b32_e64 v120, v78, v16, s24
	v_cndmask_b32_e64 v78, v82, v11, s11
	v_cndmask_b32_e64 v82, v113, v49, s46
	v_mul_f64 v[120:121], v[120:121], v[136:137]
	v_cndmask_b32_e64 v78, v78, v13, s12
	v_rcp_f64_e32 v[116:117], v[102:103]
	v_cndmask_b32_e64 v78, v78, v15, s6
	v_cndmask_b32_e64 v125, v78, v17, s7
	;; [unrolled: 1-line block ×3, first 2 shown]
	v_fma_f64 v[118:119], -v[102:103], v[116:117], 1.0
	v_fma_f64 v[116:117], v[116:117], v[118:119], v[116:117]
	v_fma_f64 v[118:119], -v[102:103], v[116:117], 1.0
	v_fma_f64 v[116:117], v[116:117], v[118:119], v[116:117]
	v_div_scale_f64 v[118:119], vcc_lo, v[88:89], v[100:101], v[88:89]
	v_mul_f64 v[122:123], v[118:119], v[116:117]
	v_fma_f64 v[102:103], -v[102:103], v[122:123], v[118:119]
	s_waitcnt vmcnt(0)
	v_lshl_add_u32 v80, v23, 2, 0
	buffer_load_dword v138, v80, s[0:3], 0 offen offset:40
	v_cndmask_b32_e64 v80, v0, v2, s16
	v_cndmask_b32_e64 v80, v80, v4, s17
	;; [unrolled: 1-line block ×15, first 2 shown]
	v_fma_f64 v[118:119], v[124:125], v[108:109], v[120:121]
	v_cndmask_b32_e64 v120, v79, v49, s42
	v_cndmask_b32_e64 v121, v81, v49, s44
	;; [unrolled: 1-line block ×3, first 2 shown]
	v_div_fmas_f64 v[78:79], v[102:103], v[116:117], v[122:123]
	v_cndmask_b32_e64 v102, v112, v94, s27
	v_cndmask_b32_e64 v49, v83, v49, s40
	;; [unrolled: 1-line block ×11, first 2 shown]
	v_cmp_eq_u32_e32 vcc_lo, 8, v23
	v_cndmask_b32_e64 v103, v103, v120, s13
	v_cndmask_b32_e64 v81, v81, v128, s11
	;; [unrolled: 1-line block ×8, first 2 shown]
	v_div_fixup_f64 v[88:89], v[78:79], v[100:101], v[88:89]
	v_cndmask_b32_e64 v78, v102, v94, s17
	v_cndmask_b32_e64 v79, v80, v131, s26
	;; [unrolled: 1-line block ×14, first 2 shown]
	v_mul_f64 v[78:79], v[78:79], v[136:137]
	v_cndmask_b32_e64 v83, v83, v135, s11
	v_cndmask_b32_e64 v81, v81, v131, s6
	;; [unrolled: 1-line block ×6, first 2 shown]
	v_add_f64 v[100:101], -v[88:89], 1.0
	v_cndmask_b32_e64 v4, v4, v115, s30
	v_cndmask_b32_e64 v80, v80, v127, s30
	v_cndmask_b32_e64 v81, v81, v130, s7
	v_cndmask_b32_e64 v83, v83, v132, s6
	v_cndmask_b32_e64 v6, v6, v118, s43
	v_cndmask_b32_e64 v4, v4, v90, s31
	v_cndmask_b32_e64 v113, v80, v126, s31
	v_cndmask_b32_e64 v7, v7, v119, s43
	v_cndmask_b32_e64 v80, v83, v133, s7
	v_cndmask_b32_e64 v8, v8, v118, s41
	v_cndmask_b32_e64 v4, v4, v82, s33
	v_cndmask_b32_e64 v83, v113, v141, s33
	v_cndmask_b32_e64 v9, v9, v119, s41
	v_cndmask_b32_e64 v10, v10, v118, s39
	v_fma_f64 v[78:79], v[80:81], v[108:109], v[78:79]
	v_cndmask_b32_e64 v81, v4, v20, s34
	v_cndmask_b32_e64 v80, v83, v140, s34
	;; [unrolled: 1-line block ×6, first 2 shown]
	v_mul_f64 v[80:81], v[80:81], v[100:101]
	v_cndmask_b32_e64 v0, v4, v115, s19
	v_cndmask_b32_e64 v2, v83, v127, s19
	v_cndmask_b32_e64 v109, v5, v119, s42
	v_cndmask_b32_e64 v3, v108, v103, s8
	v_cndmask_b32_e64 v11, v11, v119, s39
	v_cndmask_b32_e64 v0, v0, v90, s21
	v_cndmask_b32_e64 v2, v2, v126, s21
	v_cndmask_b32_e64 v4, v117, v116, s14
	v_cndmask_b32_e64 v3, v3, v102, s25
	v_cndmask_b32_e64 v5, v108, v103, s14
	v_cndmask_b32_e64 v0, v0, v82, s22
	v_cndmask_b32_e64 v2, v2, v141, s22
	v_cndmask_b32_e64 v12, v12, v118, s47
	v_cndmask_b32_e64 v3, v3, v6, s28
	v_cndmask_b32_e64 v13, v13, v119, s47
	v_cndmask_b32_e64 v1, v0, v20, s23
	v_cndmask_b32_e64 v0, v2, v140, s23
	v_cndmask_b32_e64 v2, v117, v116, s8
	v_cndmask_b32_e64 v3, v3, v8, s29
	v_cndmask_b32_e64 v4, v4, v109, s13
	v_cndmask_b32_e64 v5, v5, v102, s13
	v_fma_f64 v[0:1], v[0:1], v[88:89], v[80:81]
	v_cndmask_b32_e64 v2, v2, v109, s25
	v_cndmask_b32_e64 v3, v3, v10, s30
	;; [unrolled: 1-line block ×21, first 2 shown]
	v_cndmask_b32_e32 v112, v20, v1, vcc_lo
	v_cndmask_b32_e64 v20, v3, v14, s33
	v_cndmask_b32_e64 v4, v4, v13, s21
	;; [unrolled: 1-line block ×14, first 2 shown]
	v_mul_f64 v[2:3], v[2:3], v[100:101]
	v_cndmask_b32_e64 v131, v131, v79, s46
	v_cndmask_b32_e64 v129, v129, v79, s47
	;; [unrolled: 1-line block ×6, first 2 shown]
	v_cmp_eq_u32_e64 s7, 6, v23
	v_cmp_eq_u32_e64 s11, 3, v23
	v_cndmask_b32_e64 v4, v4, v15, s22
	v_cndmask_b32_e64 v20, v5, v14, s22
	;; [unrolled: 1-line block ×10, first 2 shown]
	v_cmp_eq_u32_e64 s12, 1, v23
	v_cmp_eq_u32_e64 s6, 7, v23
	;; [unrolled: 1-line block ×3, first 2 shown]
	v_cndmask_b32_e64 v20, v20, v105, s28
	v_cndmask_b32_e64 v47, v47, v104, s28
	v_fma_f64 v[94:95], v[4:5], v[88:89], v[2:3]
	v_cmp_eq_u32_e64 s10, 4, v23
	v_cmp_eq_u32_e64 s8, 2, v23
	v_cndmask_b32_e64 v4, v20, v107, s29
	v_cndmask_b32_e64 v5, v47, v106, s29
	;; [unrolled: 1-line block ×7, first 2 shown]
	v_cmp_eq_u32_e64 s14, 0, v23
	v_cndmask_b32_e64 v113, v82, v1, s6
	v_cndmask_b32_e64 v115, v115, v1, s9
	;; [unrolled: 1-line block ×6, first 2 shown]
	v_mul_f64 v[2:3], v[84:85], v[100:101]
	v_cndmask_b32_e64 v83, v49, v1, s14
	v_cndmask_b32_e64 v1, v4, v129, s31
	;; [unrolled: 1-line block ×5, first 2 shown]
	v_cndmask_b32_e32 v124, v140, v0, vcc_lo
	v_cndmask_b32_e64 v125, v141, v0, s6
	v_cndmask_b32_e64 v126, v126, v0, s7
	;; [unrolled: 1-line block ×10, first 2 shown]
	v_cndmask_b32_e32 v17, v17, v95, vcc_lo
	v_cndmask_b32_e64 v1, v0, v130, s34
	v_cndmask_b32_e64 v0, v4, v133, s34
	;; [unrolled: 1-line block ×4, first 2 shown]
	v_fma_f64 v[44:45], v[86:87], v[88:89], v[2:3]
	v_cndmask_b32_e32 v16, v16, v94, vcc_lo
	v_mul_f64 v[0:1], v[0:1], v[100:101]
	v_cndmask_b32_e64 v4, v4, v128, s19
	v_cndmask_b32_e64 v5, v5, v135, s19
	;; [unrolled: 1-line block ×21, first 2 shown]
	v_fma_f64 v[46:47], v[46:47], v[88:89], v[0:1]
	v_cndmask_b32_e64 v2, v103, v94, s12
	v_cndmask_b32_e64 v1, v117, v95, s14
	;; [unrolled: 1-line block ×3, first 2 shown]
	v_cndmask_b32_e32 v117, v43, v45, vcc_lo
	v_cndmask_b32_e32 v123, v35, v44, vcc_lo
	v_cndmask_b32_e64 v119, v41, v45, s6
	v_cndmask_b32_e64 v122, v34, v44, s6
	;; [unrolled: 1-line block ×16, first 2 shown]
	v_cndmask_b32_e32 v130, v130, v47, vcc_lo
	v_cndmask_b32_e32 v133, v133, v46, vcc_lo
	v_cndmask_b32_e64 v131, v131, v47, s6
	v_cndmask_b32_e64 v132, v132, v46, s6
	;; [unrolled: 1-line block ×16, first 2 shown]
	s_waitcnt vmcnt(0)
	buffer_store_dword v138, off, s[0:3], 0 offset:84
.LBB4_60:
	s_or_b32 exec_lo, exec_lo, s52
	buffer_store_dword v27, off, s[0:3], 0 offset:80
	s_and_saveexec_b32 s6, s4
	s_cbranch_execz .LBB4_69
; %bb.61:
	s_mov_b32 s7, 0
	s_branch .LBB4_63
.LBB4_62:                               ;   in Loop: Header=BB4_63 Depth=1
	s_or_b32 exec_lo, exec_lo, s9
	s_waitcnt vmcnt(0)
	v_cmp_gt_i32_e32 vcc_lo, 0, v20
	v_mov_b32_e32 v24, v20
	s_or_b32 s7, vcc_lo, s7
	s_andn2_b32 exec_lo, exec_lo, s7
	s_cbranch_execz .LBB4_69
.LBB4_63:                               ; =>This Inner Loop Header: Depth=1
	v_lshl_add_u32 v21, v24, 2, 0
	v_cmp_eq_u32_e32 vcc_lo, 1, v24
	s_mov_b32 s8, 0
	s_mov_b32 s9, exec_lo
	buffer_load_dword v20, v21, s[0:3], 0 offen offset:40
	v_cndmask_b32_e32 v27, v89, v87, vcc_lo
	v_cndmask_b32_e32 v28, v88, v86, vcc_lo
	v_cmp_eq_u32_e32 vcc_lo, 2, v24
	v_cndmask_b32_e32 v27, v27, v85, vcc_lo
	v_cndmask_b32_e32 v28, v28, v84, vcc_lo
	v_cmp_eq_u32_e32 vcc_lo, 3, v24
	;; [unrolled: 3-line block ×7, first 2 shown]
	v_cndmask_b32_e32 v28, v27, v117, vcc_lo
	v_cndmask_b32_e32 v27, v29, v123, vcc_lo
	v_cmpx_ngt_f64_e32 0, v[27:28]
	s_xor_b32 s9, exec_lo, s9
	s_cbranch_execnz .LBB4_66
; %bb.64:                               ;   in Loop: Header=BB4_63 Depth=1
	s_or_saveexec_b32 s9, s9
	v_mov_b32_e32 v27, 0x50
	s_xor_b32 exec_lo, exec_lo, s9
	s_cbranch_execnz .LBB4_67
.LBB4_65:                               ;   in Loop: Header=BB4_63 Depth=1
	s_or_b32 exec_lo, exec_lo, s9
	s_and_saveexec_b32 s9, s8
	s_cbranch_execz .LBB4_62
	s_branch .LBB4_68
.LBB4_66:                               ;   in Loop: Header=BB4_63 Depth=1
	buffer_load_dword v21, off, s[0:3], 0 offset:80
	s_waitcnt vmcnt(0)
	v_cmp_eq_u32_e32 vcc_lo, -1, v21
                                        ; implicit-def: $vgpr21
	s_and_b32 s8, vcc_lo, exec_lo
	s_or_saveexec_b32 s9, s9
	v_mov_b32_e32 v27, 0x50
	s_xor_b32 exec_lo, exec_lo, s9
	s_cbranch_execz .LBB4_65
.LBB4_67:                               ;   in Loop: Header=BB4_63 Depth=1
	buffer_load_dword v28, off, s[0:3], 0 offset:84
	v_mov_b32_e32 v27, 0x54
	s_or_b32 s8, s8, exec_lo
	s_waitcnt vmcnt(0)
	buffer_store_dword v28, v21, s[0:3], 0 offen offset:40
	s_or_b32 exec_lo, exec_lo, s9
	s_and_saveexec_b32 s9, s8
	s_cbranch_execz .LBB4_62
.LBB4_68:                               ;   in Loop: Header=BB4_63 Depth=1
	buffer_store_dword v24, v27, s[0:3], 0 offen
	s_branch .LBB4_62
.LBB4_69:
	s_or_b32 exec_lo, exec_lo, s6
	s_and_saveexec_b32 s6, s5
	s_cbranch_execz .LBB4_71
; %bb.70:
	v_cmp_gt_f64_e32 vcc_lo, 0, v[18:19]
	v_lshl_add_u32 v18, v25, 2, 0
	v_lshl_add_u32 v19, v22, 2, 0
	;; [unrolled: 1-line block ×3, first 2 shown]
	s_and_b32 s4, s4, vcc_lo
	s_or_b32 s4, s51, s4
	v_cndmask_b32_e64 v20, v26, -1, s4
	buffer_store_dword v22, v18, s[0:3], 0 offen offset:40
	buffer_store_dword v23, v19, s[0:3], 0 offen offset:40
	buffer_store_dword v20, v21, s[0:3], 0 offen offset:40
.LBB4_71:
	s_or_b32 exec_lo, exec_lo, s6
	s_clause 0xa
	buffer_load_dword v108, off, s[0:3], 0 offset:80
	buffer_load_dword v109, off, s[0:3], 0 offset:84
	;; [unrolled: 1-line block ×11, first 2 shown]
	v_mov_b32_e32 v24, -1
	s_mov_b32 s47, 0
	s_waitcnt vmcnt(10)
	buffer_store_dword v108, off, s[0:3], 0 offset:88
	s_waitcnt vmcnt(9)
	buffer_store_dword v109, off, s[0:3], 0 offset:92
	v_cmp_eq_u32_e32 vcc_lo, 1, v108
	v_cmp_eq_u32_e64 s4, 3, v108
	s_waitcnt vmcnt(8)
	buffer_store_dword v18, off, s[0:3], 0
	s_waitcnt vmcnt(7)
	buffer_store_dword v19, off, s[0:3], 0 offset:4
	s_waitcnt vmcnt(6)
	buffer_store_dword v23, off, s[0:3], 0 offset:8
	;; [unrolled: 2-line block ×3, first 2 shown]
	v_mov_b32_e32 v25, -1
	v_cndmask_b32_e32 v20, v97, v99, vcc_lo
	v_cndmask_b32_e32 v21, v96, v98, vcc_lo
	v_cmp_eq_u32_e32 vcc_lo, 2, v108
	s_waitcnt vmcnt(4)
	buffer_store_dword v26, off, s[0:3], 0 offset:16
	s_waitcnt vmcnt(3)
	buffer_store_dword v27, off, s[0:3], 0 offset:20
	;; [unrolled: 2-line block ×5, first 2 shown]
	v_cndmask_b32_e32 v20, v20, v95, vcc_lo
	v_cndmask_b32_e32 v21, v21, v94, vcc_lo
	v_cmp_eq_u32_e32 vcc_lo, 4, v108
	v_cndmask_b32_e64 v31, v20, v105, s4
	v_cndmask_b32_e64 v32, v21, v104, s4
	v_mov_b32_e32 v20, -1
	v_mov_b32_e32 v21, -1
	;; [unrolled: 1-line block ×4, first 2 shown]
	v_cndmask_b32_e32 v22, v31, v107, vcc_lo
	v_cmp_eq_u32_e64 s4, 5, v108
	v_cndmask_b32_e32 v31, v32, v106, vcc_lo
	v_cmp_eq_u32_e32 vcc_lo, 6, v108
	v_cndmask_b32_e64 v22, v22, v128, s4
	v_cndmask_b32_e64 v31, v31, v135, s4
	v_cmp_eq_u32_e64 s4, 7, v108
	v_cndmask_b32_e32 v18, v22, v129, vcc_lo
	v_cndmask_b32_e32 v19, v31, v134, vcc_lo
	v_cmp_eq_u32_e32 vcc_lo, 8, v108
	v_cndmask_b32_e64 v18, v18, v131, s4
	v_cndmask_b32_e64 v22, v19, v132, s4
	v_cmp_lt_i32_e64 s4, -1, v108
	v_cndmask_b32_e32 v19, v18, v130, vcc_lo
	v_cndmask_b32_e32 v18, v22, v133, vcc_lo
	s_and_saveexec_b32 s9, s4
	s_cbranch_execz .LBB4_75
; %bb.72:
	v_mov_b32_e32 v23, v19
	v_mov_b32_e32 v24, -1
	v_mov_b32_e32 v26, v108
	v_mov_b32_e32 v20, -1
	v_mov_b32_e32 v21, -1
	;; [unrolled: 1-line block ×3, first 2 shown]
	v_mov_b32_e32 v22, v18
	s_mov_b32 s10, 0
                                        ; implicit-def: $sgpr11
.LBB4_73:                               ; =>This Inner Loop Header: Depth=1
	v_lshl_add_u32 v27, v26, 2, 0
	v_cmp_gt_f64_e64 s7, 0, v[22:23]
	buffer_load_dword v29, v27, s[0:3], 0 offen offset:40
	s_waitcnt vmcnt(0)
	v_cmp_gt_i32_e32 vcc_lo, 0, v29
	v_cndmask_b32_e32 v30, v29, v108, vcc_lo
	v_cmp_eq_u32_e64 s5, 1, v30
	v_cndmask_b32_e64 v27, v97, v99, s5
	v_cndmask_b32_e64 v28, v96, v98, s5
	v_cmp_eq_u32_e64 s5, 2, v30
	v_cndmask_b32_e64 v27, v27, v95, s5
	v_cndmask_b32_e64 v28, v28, v94, s5
	;; [unrolled: 3-line block ×8, first 2 shown]
	v_cmp_le_f64_e64 s5, 0, v[22:23]
	v_cmp_gt_f64_e64 s6, 0, v[27:28]
	v_cmp_le_f64_e64 s8, 0, v[27:28]
	v_mov_b32_e32 v22, v27
	v_mov_b32_e32 v23, v28
	s_and_b32 s5, s5, s6
	s_and_b32 s6, s7, s8
	v_cndmask_b32_e64 v21, v21, v30, s5
	v_cndmask_b32_e64 v25, v25, v30, s6
	s_or_b32 s10, vcc_lo, s10
	v_cndmask_b32_e64 v24, v24, v26, s5
	v_cndmask_b32_e64 v20, v20, v26, s6
	v_mov_b32_e32 v26, v29
	s_andn2_b32 s5, s11, exec_lo
	s_and_b32 s6, s7, exec_lo
	s_or_b32 s11, s5, s6
	s_andn2_b32 exec_lo, exec_lo, s10
	s_cbranch_execnz .LBB4_73
; %bb.74:
	s_or_b32 exec_lo, exec_lo, s10
	s_and_b32 s47, s11, exec_lo
.LBB4_75:
	s_or_b32 exec_lo, exec_lo, s9
	v_mov_b32_e32 v23, -1
	v_cmp_lt_i32_e64 s5, -1, v24
	v_lshl_add_u32 v136, v109, 2, 0
	v_mov_b32_e32 v26, -1
	v_mov_b32_e32 v22, -1
	s_and_saveexec_b32 s51, s5
	s_cbranch_execz .LBB4_77
; %bb.76:
	v_cmp_eq_u32_e64 s8, 1, v21
	v_cmp_eq_u32_e64 s22, 1, v24
	;; [unrolled: 1-line block ×5, first 2 shown]
	v_cndmask_b32_e64 v22, v97, v99, s8
	v_cndmask_b32_e64 v26, v97, v99, s22
	;; [unrolled: 1-line block ×4, first 2 shown]
	v_cmp_eq_u32_e64 s23, 3, v24
	v_cndmask_b32_e64 v22, v22, v95, s13
	v_cndmask_b32_e64 v26, v26, v95, s16
	;; [unrolled: 1-line block ×4, first 2 shown]
	v_cmp_eq_u32_e64 s15, 4, v21
	v_cndmask_b32_e64 v22, v22, v105, s19
	v_cndmask_b32_e64 v26, v26, v105, s23
	;; [unrolled: 1-line block ×3, first 2 shown]
	v_cmp_eq_u32_e64 s14, 4, v24
	v_cndmask_b32_e64 v28, v28, v104, s23
	v_cndmask_b32_e64 v22, v22, v107, s15
	v_cmp_eq_u32_e64 s17, 5, v21
	v_cndmask_b32_e64 v27, v27, v106, s15
	v_cndmask_b32_e64 v26, v26, v107, s14
	;; [unrolled: 3-line block ×9, first 2 shown]
	v_cndmask_b32_e64 v26, v21, v133, s21
	v_cmp_eq_u32_e64 s45, 1, v109
	v_cndmask_b32_e64 v29, v29, v130, s11
	v_cndmask_b32_e64 v28, v28, v133, s11
	v_cmp_eq_u32_e64 s46, 0, v109
	v_add_f64 v[30:31], -v[26:27], 0
	v_cmp_eq_u32_e64 s39, 7, v109
	v_cmp_eq_u32_e64 s40, 6, v109
	v_add_f64 v[32:33], v[28:29], -v[26:27]
	v_cmp_eq_u32_e64 s41, 5, v109
	v_cmp_eq_u32_e64 s42, 4, v109
	;; [unrolled: 1-line block ×20, first 2 shown]
	v_div_scale_f64 v[34:35], null, v[32:33], v[32:33], v[30:31]
	v_div_scale_f64 v[38:39], vcc_lo, v[30:31], v[32:33], v[30:31]
	v_rcp_f64_e32 v[21:22], v[34:35]
	v_fma_f64 v[36:37], -v[34:35], v[21:22], 1.0
	v_fma_f64 v[21:22], v[21:22], v[36:37], v[21:22]
	v_fma_f64 v[36:37], -v[34:35], v[21:22], 1.0
	v_fma_f64 v[36:37], v[21:22], v[36:37], v[21:22]
	buffer_load_dword v22, v136, s[0:3], 0 offen offset:40
	v_cndmask_b32_e64 v21, v83, v81, s8
	v_cndmask_b32_e64 v21, v21, v79, s13
	;; [unrolled: 1-line block ×4, first 2 shown]
	v_mul_f64 v[40:41], v[38:39], v[36:37]
	v_cndmask_b32_e64 v21, v21, v115, s17
	v_cndmask_b32_e64 v21, v21, v114, s18
	;; [unrolled: 1-line block ×3, first 2 shown]
	v_fma_f64 v[34:35], -v[34:35], v[40:41], v[38:39]
	v_div_fmas_f64 v[34:35], v[34:35], v[36:37], v[40:41]
	v_cmp_eq_u32_e32 vcc_lo, 8, v109
	v_div_fixup_f64 v[137:138], v[34:35], v[32:33], v[30:31]
	v_cndmask_b32_e64 v30, v82, v80, s8
	v_cndmask_b32_e64 v31, v83, v81, s22
	;; [unrolled: 1-line block ×14, first 2 shown]
	v_add_f64 v[139:140], -v[137:138], 1.0
	v_cndmask_b32_e64 v32, v33, v115, s9
	v_cndmask_b32_e64 v21, v21, v127, s9
	;; [unrolled: 1-line block ×11, first 2 shown]
	v_mul_f64 v[26:27], v[26:27], v[139:140]
	v_mul_f64 v[30:31], v[30:31], v[139:140]
	v_fma_f64 v[41:42], v[28:29], v[137:138], v[26:27]
	v_fma_f64 v[141:142], v[32:33], v[137:138], v[30:31]
	v_cndmask_b32_e64 v26, v98, v41, s45
	v_cndmask_b32_e64 v21, v96, v41, s46
	;; [unrolled: 1-line block ×7, first 2 shown]
	v_cndmask_b32_e32 v33, v133, v41, vcc_lo
	v_cndmask_b32_e64 v32, v132, v41, s39
	v_cndmask_b32_e64 v31, v134, v41, s40
	v_cndmask_b32_e64 v30, v135, v41, s41
	v_cndmask_b32_e64 v29, v106, v41, s42
	v_cndmask_b32_e64 v28, v104, v41, s43
	v_cndmask_b32_e64 v27, v94, v41, s44
	v_cndmask_b32_e32 v41, v130, v42, vcc_lo
	v_cndmask_b32_e64 v39, v131, v42, s39
	v_cndmask_b32_e64 v38, v129, v42, s40
	;; [unrolled: 1-line block ×10, first 2 shown]
	v_cndmask_b32_e32 v43, v124, v141, vcc_lo
	v_cndmask_b32_e64 v78, v78, v42, s31
	v_cndmask_b32_e64 v90, v90, v27, s31
	;; [unrolled: 1-line block ×36, first 2 shown]
	v_add_f64 v[98:99], -v[94:95], 0
	v_cndmask_b32_e64 v131, v89, v87, s8
	v_add_f64 v[104:105], v[96:97], -v[94:95]
	v_cndmask_b32_e64 v92, v92, v5, s13
	v_cndmask_b32_e64 v132, v132, v84, s13
	;; [unrolled: 1-line block ×21, first 2 shown]
	v_div_scale_f64 v[106:107], null, v[104:105], v[104:105], v[98:99]
	v_cndmask_b32_e64 v90, v90, v6, s23
	v_cndmask_b32_e64 v130, v130, v100, s23
	;; [unrolled: 1-line block ×19, first 2 shown]
	v_rcp_f64_e32 v[124:125], v[106:107]
	v_cndmask_b32_e64 v90, v90, v14, s12
	v_fma_f64 v[126:127], -v[106:107], v[124:125], 1.0
	s_waitcnt vmcnt(0)
	v_lshl_add_u32 v20, v22, 2, 0
	v_cmp_eq_u32_e64 s13, 0, v22
	buffer_load_dword v20, v20, s[0:3], 0 offen offset:40
	v_fma_f64 v[124:125], v[124:125], v[126:127], v[124:125]
	v_cndmask_b32_e64 v126, v128, v12, s18
	v_cndmask_b32_e64 v128, v132, v102, s15
	;; [unrolled: 1-line block ×11, first 2 shown]
	v_mul_f64 v[126:127], v[126:127], v[139:140]
	v_cndmask_b32_e64 v130, v128, v122, s20
	v_cndmask_b32_e64 v92, v92, v119, s20
	v_fma_f64 v[128:129], -v[106:107], v[124:125], 1.0
	v_cndmask_b32_e64 v131, v92, v117, s21
	v_cndmask_b32_e64 v92, v132, v118, s9
	;; [unrolled: 1-line block ×5, first 2 shown]
	v_cmp_eq_u32_e64 s9, 4, v22
	v_cndmask_b32_e64 v92, v92, v116, s10
	v_cndmask_b32_e64 v134, v132, v121, s10
	;; [unrolled: 1-line block ×3, first 2 shown]
	v_mul_f64 v[130:131], v[130:131], v[139:140]
	v_cmp_eq_u32_e64 s10, 3, v22
	v_cndmask_b32_e64 v78, v92, v119, s12
	v_cndmask_b32_e64 v90, v134, v122, s12
	;; [unrolled: 1-line block ×3, first 2 shown]
	v_cmp_eq_u32_e64 s12, 1, v22
	v_fma_f64 v[126:127], v[132:133], v[137:138], v[126:127]
	v_div_scale_f64 v[132:133], s8, v[98:99], v[104:105], v[98:99]
	v_fma_f64 v[124:125], v[124:125], v[128:129], v[124:125]
	v_cndmask_b32_e64 v129, v78, v117, s11
	v_cndmask_b32_e64 v128, v90, v123, s11
	v_cndmask_b32_e32 v90, v112, v142, vcc_lo
	v_cmp_eq_u32_e64 s11, 2, v22
	v_fma_f64 v[128:129], v[128:129], v[137:138], v[130:131]
	v_cndmask_b32_e64 v130, v79, v142, s44
	v_cndmask_b32_e64 v140, v0, v126, s46
	;; [unrolled: 1-line block ×3, first 2 shown]
	v_cndmask_b32_e32 v16, v16, v126, vcc_lo
	v_cndmask_b32_e32 v17, v17, v127, vcc_lo
	v_cndmask_b32_e64 v139, v2, v126, s45
	v_cndmask_b32_e64 v2, v83, v81, s38
	v_mul_f64 v[78:79], v[132:133], v[124:125]
	v_cndmask_b32_e64 v138, v4, v126, s44
	v_cndmask_b32_e64 v145, v5, v127, s44
	;; [unrolled: 1-line block ×9, first 2 shown]
	v_cndmask_b32_e32 v123, v123, v128, vcc_lo
	v_cndmask_b32_e32 v117, v117, v129, vcc_lo
	s_mov_b32 vcc_lo, s8
	v_cndmask_b32_e64 v122, v122, v128, s39
	v_cndmask_b32_e64 v121, v121, v128, s40
	;; [unrolled: 1-line block ×9, first 2 shown]
	v_fma_f64 v[0:1], -v[106:107], v[78:79], v[132:133]
	v_cndmask_b32_e64 v106, v84, v128, s44
	v_cndmask_b32_e64 v107, v88, v128, s46
	;; [unrolled: 1-line block ×21, first 2 shown]
	v_div_fmas_f64 v[0:1], v[0:1], v[124:125], v[78:79]
	v_cndmask_b32_e64 v12, v129, v87, s25
	v_cndmask_b32_e64 v13, v107, v86, s25
	;; [unrolled: 1-line block ×21, first 2 shown]
	v_div_fixup_f64 v[0:1], v[0:1], v[104:105], v[98:99]
	v_cndmask_b32_e64 v11, v11, v100, s37
	v_cndmask_b32_e64 v12, v12, v101, s36
	;; [unrolled: 1-line block ×21, first 2 shown]
	v_add_f64 v[2:3], -v[0:1], 1.0
	v_cndmask_b32_e64 v84, v5, v44, s27
	v_cndmask_b32_e64 v85, v11, v120, s30
	;; [unrolled: 1-line block ×21, first 2 shown]
	v_mul_f64 v[4:5], v[4:5], v[2:3]
	v_cndmask_b32_e64 v10, v10, v103, s35
	v_cndmask_b32_e64 v78, v78, v46, s30
	;; [unrolled: 1-line block ×8, first 2 shown]
	v_mul_f64 v[6:7], v[6:7], v[2:3]
	v_cndmask_b32_e64 v12, v85, v121, s24
	v_mul_f64 v[8:9], v[8:9], v[2:3]
	v_mul_f64 v[2:3], v[94:95], v[2:3]
	v_cndmask_b32_e64 v88, v10, v116, s24
	v_cndmask_b32_e64 v10, v13, v92, s6
	;; [unrolled: 1-line block ×4, first 2 shown]
	v_cmp_eq_u32_e32 vcc_lo, 8, v22
	v_cndmask_b32_e64 v78, v88, v119, s6
	v_cndmask_b32_e64 v11, v10, v90, s7
	;; [unrolled: 1-line block ×5, first 2 shown]
	v_cmp_eq_u32_e64 s8, 5, v22
	v_fma_f64 v[4:5], v[10:11], v[0:1], v[4:5]
	v_cndmask_b32_e64 v10, v79, v15, s6
	v_cmp_eq_u32_e64 s6, 7, v22
	v_cndmask_b32_e64 v11, v10, v17, s7
	v_cndmask_b32_e64 v10, v13, v16, s7
	;; [unrolled: 1-line block ×3, first 2 shown]
	v_fma_f64 v[96:97], v[96:97], v[0:1], v[2:3]
	v_cmp_eq_u32_e64 s7, 6, v22
	v_fma_f64 v[84:85], v[10:11], v[0:1], v[6:7]
	v_fma_f64 v[88:89], v[12:13], v[0:1], v[8:9]
	v_cndmask_b32_e32 v112, v90, v5, vcc_lo
	v_cndmask_b32_e32 v124, v43, v4, vcc_lo
	v_cndmask_b32_e64 v113, v92, v5, s6
	v_cndmask_b32_e64 v125, v44, v4, s6
	v_cndmask_b32_e64 v114, v114, v5, s7
	v_cndmask_b32_e64 v126, v45, v4, s7
	v_cndmask_b32_e64 v115, v115, v5, s8
	v_cndmask_b32_e64 v127, v46, v4, s8
	v_cndmask_b32_e64 v93, v93, v5, s9
	v_cndmask_b32_e64 v92, v47, v4, s9
	v_cndmask_b32_e64 v91, v91, v5, s10
	v_cndmask_b32_e64 v90, v48, v4, s10
	v_cndmask_b32_e64 v79, v130, v5, s11
	v_cndmask_b32_e64 v78, v49, v4, s11
	v_cndmask_b32_e64 v81, v81, v5, s12
	v_cndmask_b32_e64 v80, v80, v4, s12
	v_cndmask_b32_e64 v83, v83, v5, s13
	v_cndmask_b32_e64 v82, v82, v4, s13
	v_cndmask_b32_e32 v17, v17, v85, vcc_lo
	v_cndmask_b32_e32 v16, v16, v84, vcc_lo
	v_cndmask_b32_e64 v15, v15, v85, s6
	v_cndmask_b32_e64 v14, v14, v84, s6
	v_cndmask_b32_e64 v13, v141, v85, s7
	v_cndmask_b32_e64 v12, v131, v84, s7
	v_cndmask_b32_e64 v11, v142, v85, s8
	v_cndmask_b32_e64 v10, v134, v84, s8
	v_cndmask_b32_e64 v9, v143, v85, s9
	v_cndmask_b32_e64 v8, v135, v84, s9
	v_cndmask_b32_e64 v7, v144, v85, s10
	v_cndmask_b32_e64 v6, v137, v84, s10
	v_cndmask_b32_e64 v5, v145, v85, s11
	v_cndmask_b32_e64 v4, v138, v84, s11
	v_cndmask_b32_e64 v3, v146, v85, s12
	v_cndmask_b32_e64 v2, v139, v84, s12
	v_cndmask_b32_e64 v1, v147, v85, s13
	v_cndmask_b32_e64 v0, v140, v84, s13
	;; [unrolled: 18-line block ×4, first 2 shown]
	v_mov_b32_e32 v26, v109
	s_waitcnt vmcnt(0)
	buffer_store_dword v20, off, s[0:3], 0 offset:84
.LBB4_77:
	s_or_b32 exec_lo, exec_lo, s51
	buffer_store_dword v23, off, s[0:3], 0 offset:80
	s_and_saveexec_b32 s6, s4
	s_cbranch_execz .LBB4_86
; %bb.78:
	v_mov_b32_e32 v20, v108
	s_mov_b32 s7, 0
	s_branch .LBB4_80
.LBB4_79:                               ;   in Loop: Header=BB4_80 Depth=1
	s_or_b32 exec_lo, exec_lo, s9
	s_waitcnt vmcnt(0)
	v_cmp_gt_i32_e32 vcc_lo, 0, v21
	v_mov_b32_e32 v20, v21
	s_or_b32 s7, vcc_lo, s7
	s_andn2_b32 exec_lo, exec_lo, s7
	s_cbranch_execz .LBB4_86
.LBB4_80:                               ; =>This Inner Loop Header: Depth=1
	v_lshl_add_u32 v23, v20, 2, 0
	v_cmp_eq_u32_e32 vcc_lo, 1, v20
	s_mov_b32 s8, 0
	s_mov_b32 s9, exec_lo
	buffer_load_dword v21, v23, s[0:3], 0 offen offset:40
	v_cndmask_b32_e32 v27, v97, v99, vcc_lo
	v_cndmask_b32_e32 v28, v96, v98, vcc_lo
	v_cmp_eq_u32_e32 vcc_lo, 2, v20
	v_cndmask_b32_e32 v27, v27, v95, vcc_lo
	v_cndmask_b32_e32 v28, v28, v94, vcc_lo
	v_cmp_eq_u32_e32 vcc_lo, 3, v20
	;; [unrolled: 3-line block ×7, first 2 shown]
	v_cndmask_b32_e32 v28, v27, v130, vcc_lo
	v_cndmask_b32_e32 v27, v29, v133, vcc_lo
	v_cmpx_ngt_f64_e32 0, v[27:28]
	s_xor_b32 s9, exec_lo, s9
	s_cbranch_execnz .LBB4_83
; %bb.81:                               ;   in Loop: Header=BB4_80 Depth=1
	s_or_saveexec_b32 s9, s9
	v_mov_b32_e32 v27, 0x50
	s_xor_b32 exec_lo, exec_lo, s9
	s_cbranch_execnz .LBB4_84
.LBB4_82:                               ;   in Loop: Header=BB4_80 Depth=1
	s_or_b32 exec_lo, exec_lo, s9
	s_and_saveexec_b32 s9, s8
	s_cbranch_execz .LBB4_79
	s_branch .LBB4_85
.LBB4_83:                               ;   in Loop: Header=BB4_80 Depth=1
	buffer_load_dword v23, off, s[0:3], 0 offset:80
	s_waitcnt vmcnt(0)
	v_cmp_eq_u32_e32 vcc_lo, -1, v23
                                        ; implicit-def: $vgpr23
	s_and_b32 s8, vcc_lo, exec_lo
	s_or_saveexec_b32 s9, s9
	v_mov_b32_e32 v27, 0x50
	s_xor_b32 exec_lo, exec_lo, s9
	s_cbranch_execz .LBB4_82
.LBB4_84:                               ;   in Loop: Header=BB4_80 Depth=1
	buffer_load_dword v28, off, s[0:3], 0 offset:84
	v_mov_b32_e32 v27, 0x54
	s_or_b32 s8, s8, exec_lo
	s_waitcnt vmcnt(0)
	buffer_store_dword v28, v23, s[0:3], 0 offen offset:40
	s_or_b32 exec_lo, exec_lo, s9
	s_and_saveexec_b32 s9, s8
	s_cbranch_execz .LBB4_79
.LBB4_85:                               ;   in Loop: Header=BB4_80 Depth=1
	buffer_store_dword v20, v27, s[0:3], 0 offen
	s_branch .LBB4_79
.LBB4_86:
	s_or_b32 exec_lo, exec_lo, s6
	s_and_saveexec_b32 s6, s5
	s_cbranch_execz .LBB4_88
; %bb.87:
	v_cmp_gt_f64_e32 vcc_lo, 0, v[18:19]
	v_lshl_add_u32 v18, v24, 2, 0
	v_lshl_add_u32 v19, v26, 2, 0
	;; [unrolled: 1-line block ×3, first 2 shown]
	s_and_b32 s5, s4, vcc_lo
	s_or_b32 s5, s47, s5
	v_cndmask_b32_e64 v20, v25, -1, s5
	buffer_store_dword v26, v18, s[0:3], 0 offen offset:40
	buffer_store_dword v22, v19, s[0:3], 0 offen offset:40
	buffer_store_dword v20, v21, s[0:3], 0 offen offset:40
.LBB4_88:
	s_or_b32 exec_lo, exec_lo, s6
	buffer_load_dword v28, off, s[0:3], 0 offset:80
	v_mov_b32_e32 v26, 0
	v_mov_b32_e32 v22, 0
	;; [unrolled: 1-line block ×10, first 2 shown]
	s_mov_b32 s13, exec_lo
	s_waitcnt vmcnt(0)
	v_cmpx_lt_i32_e32 -1, v28
	s_cbranch_execz .LBB4_94
; %bb.89:
	v_lshl_add_u32 v18, v28, 2, 0
	v_mov_b32_e32 v20, 0
	v_mov_b32_e32 v24, 0
	;; [unrolled: 1-line block ×4, first 2 shown]
	buffer_load_dword v32, v18, s[0:3], 0 offen offset:40
	v_mov_b32_e32 v25, 0
	v_mov_b32_e32 v23, 0
	s_mov_b32 s14, exec_lo
	s_waitcnt vmcnt(0)
	v_lshl_add_u32 v18, v32, 2, 0
	buffer_load_dword v137, v18, s[0:3], 0 offen offset:40
	v_mov_b32_e32 v18, 0
	v_mov_b32_e32 v19, 0
	s_waitcnt vmcnt(0)
	v_cmpx_lt_i32_e32 -1, v137
	s_cbranch_execz .LBB4_93
; %bb.90:
	v_cmp_eq_u32_e32 vcc_lo, 1, v28
	v_cmp_eq_u32_e64 s5, 2, v28
	v_cmp_eq_u32_e64 s6, 4, v28
	;; [unrolled: 1-line block ×4, first 2 shown]
	v_cndmask_b32_e32 v18, v83, v81, vcc_lo
	v_cndmask_b32_e32 v19, v82, v80, vcc_lo
	;; [unrolled: 1-line block ×5, first 2 shown]
	v_cndmask_b32_e64 v18, v18, v79, s5
	v_cndmask_b32_e32 v23, v88, v86, vcc_lo
	v_cmp_eq_u32_e32 vcc_lo, 3, v28
	v_cndmask_b32_e64 v20, v20, v5, s5
	v_cndmask_b32_e64 v19, v19, v78, s5
	;; [unrolled: 1-line block ×4, first 2 shown]
	v_cndmask_b32_e32 v18, v18, v91, vcc_lo
	v_cndmask_b32_e32 v20, v20, v7, vcc_lo
	v_cndmask_b32_e64 v23, v23, v84, s5
	v_cmp_eq_u32_e64 s5, 6, v28
	v_cndmask_b32_e32 v19, v19, v90, vcc_lo
	v_cndmask_b32_e64 v18, v18, v93, s6
	v_cndmask_b32_e64 v20, v20, v9, s6
	v_cndmask_b32_e32 v21, v21, v6, vcc_lo
	v_cndmask_b32_e32 v22, v22, v101, vcc_lo
	v_cndmask_b32_e64 v19, v19, v92, s6
	v_cndmask_b32_e64 v18, v18, v115, s7
	;; [unrolled: 1-line block ×3, first 2 shown]
	v_cmp_eq_u32_e64 s9, 8, v28
	v_cmp_eq_u32_e64 s10, 6, v32
	v_cndmask_b32_e64 v19, v19, v127, s7
	v_cndmask_b32_e64 v18, v18, v114, s5
	;; [unrolled: 1-line block ×3, first 2 shown]
	v_cmp_eq_u32_e64 s11, 7, v32
	v_cmp_eq_u32_e64 s12, 8, v32
	v_cndmask_b32_e64 v19, v19, v126, s5
	v_cndmask_b32_e64 v18, v18, v113, s8
	;; [unrolled: 1-line block ×3, first 2 shown]
	v_mov_b32_e32 v24, 0
	v_mov_b32_e32 v25, 0
	v_cndmask_b32_e64 v19, v19, v125, s8
	v_cndmask_b32_e64 v29, v18, v112, s9
	;; [unrolled: 1-line block ×4, first 2 shown]
	v_cndmask_b32_e32 v22, v23, v100, vcc_lo
	v_cndmask_b32_e64 v31, v20, v17, s9
	v_cmp_eq_u32_e32 vcc_lo, 1, v32
	v_cndmask_b32_e64 v18, v18, v10, s7
	v_cndmask_b32_e64 v21, v21, v118, s7
	;; [unrolled: 1-line block ×4, first 2 shown]
	v_cmp_eq_u32_e64 s6, 3, v32
	v_cndmask_b32_e64 v18, v18, v12, s5
	v_cndmask_b32_e64 v19, v21, v116, s5
	;; [unrolled: 1-line block ×3, first 2 shown]
	v_cndmask_b32_e32 v21, v1, v3, vcc_lo
	v_cndmask_b32_e32 v22, v82, v80, vcc_lo
	v_cndmask_b32_e64 v18, v18, v14, s8
	v_cndmask_b32_e64 v19, v19, v119, s8
	;; [unrolled: 1-line block ×3, first 2 shown]
	v_cmp_eq_u32_e64 s5, 2, v32
	v_cmp_eq_u32_e64 s7, 4, v32
	v_cndmask_b32_e64 v30, v18, v16, s9
	v_cndmask_b32_e64 v33, v19, v117, s9
	;; [unrolled: 1-line block ×4, first 2 shown]
	v_cndmask_b32_e32 v20, v0, v2, vcc_lo
	v_cndmask_b32_e64 v22, v22, v78, s5
	v_cmp_eq_u32_e64 s8, 5, v32
	v_cndmask_b32_e32 v23, v89, v87, vcc_lo
	v_cndmask_b32_e64 v19, v21, v7, s6
	v_cndmask_b32_e32 v21, v83, v81, vcc_lo
	v_cndmask_b32_e64 v20, v20, v4, s5
	v_cndmask_b32_e64 v22, v22, v90, s6
	;; [unrolled: 1-line block ×7, first 2 shown]
	v_mul_f64 v[36:37], v[32:33], v[28:29]
	v_cndmask_b32_e64 v19, v19, v11, s8
	v_cndmask_b32_e64 v21, v21, v91, s6
	;; [unrolled: 1-line block ×4, first 2 shown]
	v_mul_f64 v[38:39], v[30:31], v[32:33]
	v_cndmask_b32_e64 v19, v19, v13, s10
	v_cndmask_b32_e64 v21, v21, v93, s7
	;; [unrolled: 1-line block ×3, first 2 shown]
	v_mul_f64 v[40:41], v[32:33], v[32:33]
	v_cndmask_b32_e64 v19, v19, v15, s11
	v_cndmask_b32_e64 v21, v21, v115, s8
	;; [unrolled: 1-line block ×7, first 2 shown]
	v_cndmask_b32_e32 v23, v88, v86, vcc_lo
	v_cndmask_b32_e64 v19, v19, v14, s11
	v_cndmask_b32_e64 v20, v20, v113, s11
	;; [unrolled: 1-line block ×10, first 2 shown]
	v_add_f64 v[48:49], v[34:35], -v[30:31]
	v_mov_b32_e32 v22, 0
	v_add_f64 v[44:45], v[42:43], -v[28:29]
	v_cndmask_b32_e64 v18, v19, v118, s8
	v_cndmask_b32_e64 v19, v20, v102, s7
	v_mov_b32_e32 v20, 0
	v_mov_b32_e32 v23, 0
	;; [unrolled: 1-line block ×3, first 2 shown]
	v_cndmask_b32_e64 v18, v18, v116, s10
	v_cndmask_b32_e64 v19, v19, v120, s8
	;; [unrolled: 1-line block ×6, first 2 shown]
	v_mov_b32_e32 v18, 0
	v_mov_b32_e32 v19, 0
	v_cndmask_b32_e64 v46, v46, v123, s12
	s_mov_b32 s12, 0
.LBB4_91:                               ; =>This Inner Loop Header: Depth=1
	v_lshl_add_u32 v138, v137, 2, 0
	v_cmp_eq_u32_e32 vcc_lo, 1, v137
	v_cmp_eq_u32_e64 s5, 2, v137
	v_cmp_eq_u32_e64 s6, 3, v137
	;; [unrolled: 1-line block ×7, first 2 shown]
	buffer_load_dword v137, v138, s[0:3], 0 offen offset:40
	v_cndmask_b32_e32 v144, v83, v81, vcc_lo
	v_cndmask_b32_e32 v145, v82, v80, vcc_lo
	;; [unrolled: 1-line block ×5, first 2 shown]
	v_cndmask_b32_e64 v144, v144, v79, s5
	v_cndmask_b32_e64 v145, v145, v78, s5
	;; [unrolled: 1-line block ×4, first 2 shown]
	v_cndmask_b32_e32 v149, v88, v86, vcc_lo
	v_cndmask_b32_e64 v144, v144, v91, s6
	v_cndmask_b32_e64 v145, v145, v90, s6
	;; [unrolled: 1-line block ×23, first 2 shown]
	v_add_f64 v[138:139], v[32:33], v[46:47]
	v_cndmask_b32_e64 v149, v149, v12, s9
	v_cndmask_b32_e64 v145, v144, v112, s11
	;; [unrolled: 1-line block ×4, first 2 shown]
	v_fma_f64 v[142:143], v[46:47], v[46:47], v[40:41]
	v_cndmask_b32_e64 v150, v149, v14, s10
	v_cndmask_b32_e64 v153, v151, v118, s8
	v_add_f64 v[146:147], v[144:145], -v[28:29]
	v_cndmask_b32_e64 v149, v148, v17, s11
	v_cndmask_b32_e64 v152, v152, v120, s8
	;; [unrolled: 1-line block ×4, first 2 shown]
	v_add_f64 v[140:141], v[28:29], v[42:43]
	v_add_f64 v[154:155], v[30:31], v[34:35]
	v_cndmask_b32_e64 v152, v152, v121, s9
	v_add_f64 v[150:151], v[148:149], -v[30:31]
	v_cndmask_b32_e64 v153, v153, v119, s10
	v_fma_f64 v[42:43], v[42:43], v[46:47], v[36:37]
	v_fma_f64 v[34:35], v[34:35], v[46:47], v[38:39]
	v_cndmask_b32_e64 v152, v152, v122, s10
	v_cndmask_b32_e64 v153, v153, v117, s11
	;; [unrolled: 1-line block ×3, first 2 shown]
	v_mul_f64 v[48:49], v[146:147], v[48:49]
	v_add_f64 v[138:139], v[152:153], v[138:139]
	v_fma_f64 v[142:143], v[152:153], v[152:153], v[142:143]
	v_fma_f64 v[42:43], v[152:153], v[144:145], v[42:43]
	;; [unrolled: 1-line block ×3, first 2 shown]
	v_fma_f64 v[44:45], v[150:151], v[44:45], -v[48:49]
	v_add_f64 v[48:49], v[140:141], v[144:145]
	v_add_f64 v[140:141], v[148:149], v[154:155]
	v_fma_f64 v[142:143], v[32:33], v[46:47], v[142:143]
	v_mul_f64 v[154:155], v[138:139], v[44:45]
	v_fma_f64 v[22:23], v[138:139], v[44:45], v[22:23]
	v_fma_f64 v[142:143], v[32:33], v[152:153], v[142:143]
	v_mul_f64 v[48:49], v[48:49], v[154:155]
	v_mul_f64 v[140:141], v[140:141], v[154:155]
	v_fma_f64 v[46:47], v[152:153], v[46:47], v[142:143]
	v_fma_f64 v[42:43], v[42:43], v[44:45], v[48:49]
	v_fma_f64 v[34:35], v[34:35], v[44:45], v[140:141]
	v_mov_b32_e32 v48, v150
	v_fma_f64 v[18:19], v[44:45], v[46:47], v[18:19]
	v_mov_b32_e32 v44, v146
	v_mov_b32_e32 v46, v152
	;; [unrolled: 1-line block ×5, first 2 shown]
	v_add_f64 v[24:25], v[24:25], v[42:43]
	v_add_f64 v[20:21], v[20:21], v[34:35]
	v_mov_b32_e32 v42, v144
	v_mov_b32_e32 v34, v148
	;; [unrolled: 1-line block ×4, first 2 shown]
	s_waitcnt vmcnt(0)
	v_cmp_gt_i32_e32 vcc_lo, 0, v137
	s_or_b32 s12, vcc_lo, s12
	s_andn2_b32 exec_lo, exec_lo, s12
	s_cbranch_execnz .LBB4_91
; %bb.92:
	s_or_b32 exec_lo, exec_lo, s12
.LBB4_93:
	s_or_b32 exec_lo, exec_lo, s14
.LBB4_94:
	s_or_b32 exec_lo, exec_lo, s13
	s_and_saveexec_b32 s13, s4
	s_cbranch_execz .LBB4_98
; %bb.95:
	v_mov_b32_e32 v26, v108
	s_mov_b32 s14, 0x4ad4b81f
	s_mov_b32 s16, 0
	;; [unrolled: 1-line block ×3, first 2 shown]
.LBB4_96:                               ; =>This Inner Loop Header: Depth=1
	v_lshl_add_u32 v30, v26, 2, 0
	v_cmp_eq_u32_e32 vcc_lo, 1, v26
	v_cmp_eq_u32_e64 s5, 2, v26
	v_cmp_eq_u32_e64 s6, 3, v26
	;; [unrolled: 1-line block ×8, first 2 shown]
	buffer_load_dword v26, v30, s[0:3], 0 offen
	v_cndmask_b32_e32 v27, v97, v99, vcc_lo
	v_cndmask_b32_e32 v28, v96, v98, vcc_lo
	v_cndmask_b32_e64 v27, v27, v95, s5
	v_cndmask_b32_e64 v28, v28, v94, s5
	;; [unrolled: 1-line block ×14, first 2 shown]
	v_add_f64 v[27:28], -v[27:28], s[14:15]
	v_cndmask_b32_e64 v95, v95, v28, s5
	v_cndmask_b32_e64 v94, v94, v27, s5
	;; [unrolled: 1-line block ×14, first 2 shown]
	v_cndmask_b32_e32 v99, v99, v28, vcc_lo
	v_cndmask_b32_e32 v98, v98, v27, vcc_lo
	v_cndmask_b32_e64 v97, v97, v28, s12
	v_cndmask_b32_e64 v96, v96, v27, s12
	s_waitcnt vmcnt(0)
	v_cmp_gt_i32_e64 s5, 0, v26
	s_or_b32 s16, s5, s16
	s_andn2_b32 exec_lo, exec_lo, s16
	s_cbranch_execnz .LBB4_96
; %bb.97:
	s_or_b32 exec_lo, exec_lo, s16
	v_cmp_eq_u32_e32 vcc_lo, 1, v108
	v_cndmask_b32_e32 v26, v97, v99, vcc_lo
	v_cndmask_b32_e32 v27, v96, v98, vcc_lo
	v_cmp_eq_u32_e32 vcc_lo, 2, v108
	v_cndmask_b32_e32 v26, v26, v95, vcc_lo
	v_cndmask_b32_e32 v27, v27, v94, vcc_lo
	;; [unrolled: 3-line block ×8, first 2 shown]
.LBB4_98:
	s_or_b32 exec_lo, exec_lo, s13
	v_mov_b32_e32 v29, v27
	v_mov_b32_e32 v34, -1
	v_mov_b32_e32 v28, v26
	v_mov_b32_e32 v35, -1
	v_mov_b32_e32 v30, -1
	;; [unrolled: 1-line block ×5, first 2 shown]
	s_and_saveexec_b32 s9, s4
	s_cbranch_execz .LBB4_102
; %bb.99:
	v_mov_b32_e32 v33, v27
	v_mov_b32_e32 v34, -1
	v_mov_b32_e32 v36, v108
	v_mov_b32_e32 v30, -1
	v_mov_b32_e32 v31, -1
	;; [unrolled: 1-line block ×3, first 2 shown]
	v_mov_b32_e32 v32, v26
	s_mov_b32 s10, 0
.LBB4_100:                              ; =>This Inner Loop Header: Depth=1
	v_lshl_add_u32 v28, v36, 2, 0
	buffer_load_dword v37, v28, s[0:3], 0 offen
	s_waitcnt vmcnt(0)
	v_cmp_gt_i32_e32 vcc_lo, 0, v37
	v_cndmask_b32_e32 v38, v37, v108, vcc_lo
	v_cmp_eq_u32_e64 s5, 1, v38
	v_cmp_eq_u32_e64 s6, 8, v38
	v_cndmask_b32_e64 v28, v97, v99, s5
	v_cndmask_b32_e64 v29, v96, v98, s5
	v_cmp_eq_u32_e64 s5, 2, v38
	v_cndmask_b32_e64 v28, v28, v95, s5
	v_cndmask_b32_e64 v29, v29, v94, s5
	;; [unrolled: 3-line block ×7, first 2 shown]
	v_mov_b32_e32 v28, v32
	v_mov_b32_e32 v29, v33
	v_cndmask_b32_e64 v33, v39, v130, s6
	v_cndmask_b32_e64 v32, v40, v133, s6
	v_cmp_le_f64_e64 s5, 0, v[28:29]
	v_cmp_gt_f64_e64 s7, 0, v[28:29]
	v_cmp_gt_f64_e64 s6, 0, v[32:33]
	v_cmp_le_f64_e64 s8, 0, v[32:33]
	s_and_b32 s5, s5, s6
	s_and_b32 s6, s7, s8
	v_cndmask_b32_e64 v31, v31, v38, s5
	v_cndmask_b32_e64 v35, v35, v38, s6
	;; [unrolled: 1-line block ×4, first 2 shown]
	v_mov_b32_e32 v36, v37
	s_or_b32 s10, vcc_lo, s10
	s_andn2_b32 exec_lo, exec_lo, s10
	s_cbranch_execnz .LBB4_100
; %bb.101:
	s_or_b32 exec_lo, exec_lo, s10
.LBB4_102:
	s_or_b32 exec_lo, exec_lo, s9
	v_mov_b32_e32 v33, -1
	v_cmp_lt_i32_e64 s5, -1, v34
	v_mov_b32_e32 v36, -1
	v_mov_b32_e32 v32, -1
	s_and_saveexec_b32 s47, s5
	s_cbranch_execz .LBB4_104
; %bb.103:
	v_cmp_eq_u32_e64 s8, 1, v31
	v_cmp_eq_u32_e64 s22, 1, v34
	;; [unrolled: 1-line block ×5, first 2 shown]
	v_cndmask_b32_e64 v32, v97, v99, s8
	v_cndmask_b32_e64 v36, v97, v99, s22
	;; [unrolled: 1-line block ×4, first 2 shown]
	v_cmp_eq_u32_e64 s23, 3, v34
	v_cndmask_b32_e64 v32, v32, v95, s13
	v_cndmask_b32_e64 v36, v36, v95, s16
	;; [unrolled: 1-line block ×4, first 2 shown]
	v_cmp_eq_u32_e64 s15, 4, v31
	v_cndmask_b32_e64 v32, v32, v105, s19
	v_cndmask_b32_e64 v36, v36, v105, s23
	;; [unrolled: 1-line block ×3, first 2 shown]
	v_cmp_eq_u32_e64 s14, 4, v34
	v_cndmask_b32_e64 v38, v38, v104, s23
	v_cndmask_b32_e64 v32, v32, v107, s15
	v_cmp_eq_u32_e64 s17, 5, v31
	v_cndmask_b32_e64 v37, v37, v106, s15
	v_cndmask_b32_e64 v36, v36, v107, s14
	v_cmp_eq_u32_e64 s9, 5, v34
	v_cndmask_b32_e64 v38, v38, v106, s14
	v_cndmask_b32_e64 v32, v32, v128, s17
	v_cmp_eq_u32_e64 s18, 6, v31
	v_cndmask_b32_e64 v37, v37, v135, s17
	v_cndmask_b32_e64 v36, v36, v128, s9
	v_cmp_eq_u32_e64 s10, 6, v34
	v_cndmask_b32_e64 v38, v38, v135, s9
	v_cndmask_b32_e64 v32, v32, v129, s18
	v_cmp_eq_u32_e64 s20, 7, v31
	v_cndmask_b32_e64 v37, v37, v134, s18
	v_cndmask_b32_e64 v36, v36, v129, s10
	v_cmp_eq_u32_e64 s12, 7, v34
	v_cndmask_b32_e64 v38, v38, v134, s10
	v_cndmask_b32_e64 v32, v32, v131, s20
	v_cmp_eq_u32_e64 s21, 8, v31
	v_cndmask_b32_e64 v31, v37, v132, s20
	v_cndmask_b32_e64 v39, v36, v131, s12
	v_cmp_eq_u32_e64 s11, 8, v34
	v_cndmask_b32_e64 v38, v38, v132, s12
	v_cndmask_b32_e64 v37, v32, v130, s21
	v_cndmask_b32_e64 v36, v31, v133, s21
	v_cmp_eq_u32_e64 s45, 1, v109
	v_cndmask_b32_e64 v39, v39, v130, s11
	v_cndmask_b32_e64 v38, v38, v133, s11
	v_cmp_eq_u32_e64 s46, 0, v109
	v_add_f64 v[40:41], -v[36:37], 0
	v_cmp_eq_u32_e64 s43, 3, v109
	v_cmp_eq_u32_e64 s44, 2, v109
	v_add_f64 v[42:43], v[38:39], -v[36:37]
	v_cmp_eq_u32_e64 s25, 1, v30
	v_cmp_eq_u32_e64 s38, 1, v35
	;; [unrolled: 1-line block ×20, first 2 shown]
	v_cndmask_b32_e64 v146, v89, v87, s8
	v_div_scale_f64 v[44:45], null, v[42:43], v[42:43], v[40:41]
	v_div_scale_f64 v[48:49], vcc_lo, v[40:41], v[42:43], v[40:41]
	v_cndmask_b32_e64 v147, v88, v86, s8
	v_cndmask_b32_e64 v144, v89, v87, s22
	;; [unrolled: 1-line block ×11, first 2 shown]
	v_rcp_f64_e32 v[31:32], v[44:45]
	v_fma_f64 v[46:47], -v[44:45], v[31:32], 1.0
	v_fma_f64 v[31:32], v[31:32], v[46:47], v[31:32]
	v_fma_f64 v[46:47], -v[44:45], v[31:32], 1.0
	v_fma_f64 v[46:47], v[31:32], v[46:47], v[31:32]
	buffer_load_dword v32, v136, s[0:3], 0 offen
	v_cndmask_b32_e64 v31, v83, v81, s8
	v_cndmask_b32_e64 v31, v31, v79, s13
	;; [unrolled: 1-line block ×4, first 2 shown]
	v_mul_f64 v[136:137], v[48:49], v[46:47]
	v_cndmask_b32_e64 v31, v31, v115, s17
	v_cndmask_b32_e64 v31, v31, v114, s18
	;; [unrolled: 1-line block ×3, first 2 shown]
	v_fma_f64 v[44:45], -v[44:45], v[136:137], v[48:49]
	v_div_fmas_f64 v[44:45], v[44:45], v[46:47], v[136:137]
	v_cmp_eq_u32_e32 vcc_lo, 8, v109
	v_div_fixup_f64 v[136:137], v[44:45], v[42:43], v[40:41]
	v_cndmask_b32_e64 v40, v82, v80, s8
	v_cndmask_b32_e64 v41, v83, v81, s22
	;; [unrolled: 1-line block ×14, first 2 shown]
	v_add_f64 v[138:139], -v[136:137], 1.0
	v_cndmask_b32_e64 v42, v43, v115, s9
	v_cndmask_b32_e64 v31, v31, v127, s9
	;; [unrolled: 1-line block ×11, first 2 shown]
	v_mul_f64 v[36:37], v[36:37], v[138:139]
	v_mul_f64 v[40:41], v[40:41], v[138:139]
	v_fma_f64 v[142:143], v[38:39], v[136:137], v[36:37]
	v_fma_f64 v[140:141], v[42:43], v[136:137], v[40:41]
	v_cndmask_b32_e64 v36, v98, v142, s45
	v_cndmask_b32_e64 v31, v96, v142, s46
	;; [unrolled: 1-line block ×40, first 2 shown]
	v_cndmask_b32_e32 v43, v133, v142, vcc_lo
	v_cndmask_b32_e32 v96, v130, v143, vcc_lo
	v_cndmask_b32_e64 v97, v97, v49, s27
	v_cndmask_b32_e64 v30, v98, v42, s27
	;; [unrolled: 1-line block ×11, first 2 shown]
	v_add_f64 v[106:107], -v[97:98], 0
	v_cndmask_b32_e32 v124, v124, v140, vcc_lo
	v_add_f64 v[128:129], v[104:105], -v[97:98]
	v_cndmask_b32_e64 v143, v143, v4, s13
	v_cndmask_b32_e64 v142, v142, v7, s19
	;; [unrolled: 1-line block ×21, first 2 shown]
	v_div_scale_f64 v[130:131], null, v[128:129], v[128:129], v[106:107]
	v_cndmask_b32_e64 v140, v140, v4, s16
	v_cndmask_b32_e64 v99, v99, v7, s23
	;; [unrolled: 1-line block ×12, first 2 shown]
	v_rcp_f64_e32 v[132:133], v[130:131]
	v_cndmask_b32_e64 v140, v140, v12, s10
	v_cndmask_b32_e64 v99, v99, v15, s12
	;; [unrolled: 1-line block ×3, first 2 shown]
	v_fma_f64 v[134:135], -v[130:131], v[132:133], 1.0
	v_fma_f64 v[132:133], v[132:133], v[134:135], v[132:133]
	s_waitcnt vmcnt(0)
	v_lshl_add_u32 v30, v32, 2, 0
	v_cndmask_b32_e64 v134, v142, v13, s18
	v_cndmask_b32_e64 v135, v143, v12, s18
	;; [unrolled: 1-line block ×4, first 2 shown]
	buffer_load_dword v30, v30, s[0:3], 0 offen
	v_cndmask_b32_e64 v146, v144, v103, s14
	v_cndmask_b32_e64 v134, v134, v15, s20
	;; [unrolled: 1-line block ×12, first 2 shown]
	v_mul_f64 v[134:135], v[134:135], v[138:139]
	v_cndmask_b32_e64 v144, v142, v119, s20
	v_cndmask_b32_e64 v148, v143, v122, s20
	v_fma_f64 v[142:143], -v[130:131], v[132:133], 1.0
	v_cndmask_b32_e64 v146, v146, v116, s10
	v_cndmask_b32_e64 v147, v147, v121, s10
	;; [unrolled: 1-line block ×4, first 2 shown]
	v_cmp_eq_u32_e64 s9, 4, v32
	v_cmp_eq_u32_e64 s10, 3, v32
	;; [unrolled: 1-line block ×3, first 2 shown]
	v_mul_f64 v[138:139], v[144:145], v[138:139]
	v_cndmask_b32_e64 v145, v99, v17, s11
	v_cndmask_b32_e64 v144, v140, v16, s11
	;; [unrolled: 1-line block ×4, first 2 shown]
	v_cmp_eq_u32_e64 s12, 1, v32
	v_fma_f64 v[134:135], v[144:145], v[136:137], v[134:135]
	v_div_scale_f64 v[144:145], s8, v[106:107], v[128:129], v[106:107]
	v_fma_f64 v[132:133], v[132:133], v[142:143], v[132:133]
	v_cndmask_b32_e64 v143, v99, v117, s11
	v_cndmask_b32_e64 v142, v140, v123, s11
	v_cndmask_b32_e32 v99, v112, v141, vcc_lo
	v_cmp_eq_u32_e64 s11, 2, v32
	v_fma_f64 v[136:137], v[142:143], v[136:137], v[138:139]
	v_cndmask_b32_e64 v138, v113, v141, s39
	v_cndmask_b32_e32 v16, v16, v134, vcc_lo
	v_cndmask_b32_e64 v14, v14, v134, s39
	v_cndmask_b32_e64 v139, v12, v134, s40
	v_mul_f64 v[112:113], v[144:145], v[132:133]
	v_cndmask_b32_e64 v140, v10, v134, s41
	v_cndmask_b32_e64 v141, v8, v134, s42
	;; [unrolled: 1-line block ×6, first 2 shown]
	v_cndmask_b32_e32 v17, v17, v135, vcc_lo
	v_cndmask_b32_e64 v15, v15, v135, s39
	v_cndmask_b32_e64 v147, v13, v135, s40
	;; [unrolled: 1-line block ×8, first 2 shown]
	v_cndmask_b32_e32 v123, v123, v136, vcc_lo
	v_cndmask_b32_e32 v117, v117, v137, vcc_lo
	s_mov_b32 vcc_lo, s8
	v_cndmask_b32_e64 v2, v83, v81, s38
	v_cndmask_b32_e64 v4, v83, v81, s25
	;; [unrolled: 1-line block ×3, first 2 shown]
	v_fma_f64 v[0:1], -v[130:131], v[112:113], v[144:145]
	v_cndmask_b32_e64 v3, v82, v80, s38
	v_cndmask_b32_e64 v2, v2, v79, s34
	;; [unrolled: 1-line block ×21, first 2 shown]
	v_div_fmas_f64 v[0:1], v[0:1], v[132:133], v[112:113]
	v_cndmask_b32_e64 v3, v3, v90, s37
	v_cndmask_b32_e64 v2, v2, v93, s35
	;; [unrolled: 1-line block ×21, first 2 shown]
	v_div_fixup_f64 v[0:1], v[0:1], v[128:129], v[106:107]
	v_cndmask_b32_e64 v11, v11, v100, s37
	v_cndmask_b32_e64 v12, v12, v101, s36
	;; [unrolled: 1-line block ×21, first 2 shown]
	v_add_f64 v[2:3], -v[0:1], 1.0
	v_cndmask_b32_e64 v8, v8, v148, s29
	v_cndmask_b32_e64 v9, v9, v140, s29
	;; [unrolled: 1-line block ×21, first 2 shown]
	v_mul_f64 v[4:5], v[4:5], v[2:3]
	v_cndmask_b32_e64 v11, v7, v14, s27
	v_cndmask_b32_e64 v8, v8, v119, s27
	;; [unrolled: 1-line block ×11, first 2 shown]
	v_mul_f64 v[6:7], v[6:7], v[2:3]
	v_cndmask_b32_e64 v12, v89, v121, s24
	v_mul_f64 v[8:9], v[8:9], v[2:3]
	v_mul_f64 v[2:3], v[97:98], v[2:3]
	v_cndmask_b32_e64 v106, v10, v116, s24
	v_cndmask_b32_e64 v10, v13, v138, s6
	;; [unrolled: 1-line block ×4, first 2 shown]
	v_cmp_eq_u32_e32 vcc_lo, 8, v32
	v_cndmask_b32_e64 v84, v106, v119, s6
	v_cndmask_b32_e64 v11, v10, v99, s7
	;; [unrolled: 1-line block ×5, first 2 shown]
	v_cmp_eq_u32_e64 s8, 5, v32
	v_fma_f64 v[4:5], v[10:11], v[0:1], v[4:5]
	v_cndmask_b32_e64 v10, v85, v15, s6
	v_cmp_eq_u32_e64 s6, 7, v32
	v_cndmask_b32_e64 v11, v10, v17, s7
	v_cndmask_b32_e64 v10, v13, v16, s7
	;; [unrolled: 1-line block ×3, first 2 shown]
	v_fma_f64 v[136:137], v[104:105], v[0:1], v[2:3]
	v_cmp_eq_u32_e64 s7, 6, v32
	v_fma_f64 v[84:85], v[10:11], v[0:1], v[6:7]
	v_fma_f64 v[88:89], v[12:13], v[0:1], v[8:9]
	v_cndmask_b32_e32 v112, v99, v5, vcc_lo
	v_cndmask_b32_e32 v124, v124, v4, vcc_lo
	v_cndmask_b32_e64 v113, v138, v5, s6
	v_cndmask_b32_e64 v125, v125, v4, s6
	v_cndmask_b32_e64 v114, v114, v5, s7
	v_cndmask_b32_e64 v126, v126, v4, s7
	v_cndmask_b32_e64 v115, v115, v5, s8
	v_cndmask_b32_e64 v127, v127, v4, s8
	v_cndmask_b32_e64 v93, v93, v5, s9
	v_cndmask_b32_e64 v92, v92, v4, s9
	v_cndmask_b32_e64 v91, v91, v5, s10
	v_cndmask_b32_e64 v90, v90, v4, s10
	v_cndmask_b32_e64 v79, v79, v5, s11
	v_cndmask_b32_e64 v78, v78, v4, s11
	v_cndmask_b32_e64 v81, v81, v5, s12
	v_cndmask_b32_e64 v80, v80, v4, s12
	v_cndmask_b32_e64 v83, v83, v5, s13
	v_cndmask_b32_e64 v82, v82, v4, s13
	v_cndmask_b32_e32 v17, v17, v85, vcc_lo
	v_cndmask_b32_e32 v16, v16, v84, vcc_lo
	v_cndmask_b32_e64 v15, v15, v85, s6
	v_cndmask_b32_e64 v14, v14, v84, s6
	v_cndmask_b32_e64 v13, v147, v85, s7
	v_cndmask_b32_e64 v12, v139, v84, s7
	v_cndmask_b32_e64 v11, v148, v85, s8
	v_cndmask_b32_e64 v10, v140, v84, s8
	v_cndmask_b32_e64 v9, v149, v85, s9
	v_cndmask_b32_e64 v8, v141, v84, s9
	v_cndmask_b32_e64 v7, v150, v85, s10
	v_cndmask_b32_e64 v6, v142, v84, s10
	v_cndmask_b32_e64 v5, v151, v85, s11
	v_cndmask_b32_e64 v4, v143, v84, s11
	v_cndmask_b32_e64 v3, v152, v85, s12
	v_cndmask_b32_e64 v2, v146, v84, s12
	v_cndmask_b32_e64 v1, v135, v85, s13
	v_cndmask_b32_e64 v0, v134, v84, s13
	;; [unrolled: 18-line block ×4, first 2 shown]
	v_mov_b32_e32 v36, v109
	s_waitcnt vmcnt(0)
	buffer_store_dword v30, off, s[0:3], 0 offset:92
.LBB4_104:
	s_or_b32 exec_lo, exec_lo, s47
	buffer_store_dword v33, off, s[0:3], 0 offset:88
	s_and_saveexec_b32 s6, s4
	s_cbranch_execz .LBB4_113
; %bb.105:
	s_mov_b32 s4, 0
	s_branch .LBB4_107
.LBB4_106:                              ;   in Loop: Header=BB4_107 Depth=1
	s_or_b32 exec_lo, exec_lo, s8
	s_waitcnt vmcnt(0)
	v_cmp_gt_i32_e32 vcc_lo, 0, v30
	v_mov_b32_e32 v108, v30
	s_or_b32 s4, vcc_lo, s4
	s_andn2_b32 exec_lo, exec_lo, s4
	s_cbranch_execz .LBB4_113
.LBB4_107:                              ; =>This Inner Loop Header: Depth=1
	v_lshl_add_u32 v31, v108, 2, 0
	v_cmp_eq_u32_e32 vcc_lo, 1, v108
	s_mov_b32 s7, 0
	s_mov_b32 s8, exec_lo
	buffer_load_dword v30, v31, s[0:3], 0 offen
	v_cndmask_b32_e32 v33, v97, v99, vcc_lo
	v_cndmask_b32_e32 v37, v96, v98, vcc_lo
	v_cmp_eq_u32_e32 vcc_lo, 2, v108
	v_cndmask_b32_e32 v33, v33, v95, vcc_lo
	v_cndmask_b32_e32 v37, v37, v94, vcc_lo
	v_cmp_eq_u32_e32 vcc_lo, 3, v108
	;; [unrolled: 3-line block ×7, first 2 shown]
	v_cndmask_b32_e32 v38, v33, v130, vcc_lo
	v_cndmask_b32_e32 v37, v37, v133, vcc_lo
	v_cmpx_ngt_f64_e32 0, v[37:38]
	s_xor_b32 s8, exec_lo, s8
	s_cbranch_execnz .LBB4_110
; %bb.108:                              ;   in Loop: Header=BB4_107 Depth=1
	s_or_saveexec_b32 s8, s8
	v_mov_b32_e32 v33, 0x58
	s_xor_b32 exec_lo, exec_lo, s8
	s_cbranch_execnz .LBB4_111
.LBB4_109:                              ;   in Loop: Header=BB4_107 Depth=1
	s_or_b32 exec_lo, exec_lo, s8
	s_and_saveexec_b32 s8, s7
	s_cbranch_execz .LBB4_106
	s_branch .LBB4_112
.LBB4_110:                              ;   in Loop: Header=BB4_107 Depth=1
	buffer_load_dword v31, off, s[0:3], 0 offset:88
	s_waitcnt vmcnt(0)
	v_cmp_eq_u32_e32 vcc_lo, -1, v31
                                        ; implicit-def: $vgpr31
	s_and_b32 s7, vcc_lo, exec_lo
	s_or_saveexec_b32 s8, s8
	v_mov_b32_e32 v33, 0x58
	s_xor_b32 exec_lo, exec_lo, s8
	s_cbranch_execz .LBB4_109
.LBB4_111:                              ;   in Loop: Header=BB4_107 Depth=1
	buffer_load_dword v37, off, s[0:3], 0 offset:92
	v_mov_b32_e32 v33, 0x5c
	s_or_b32 s7, s7, exec_lo
	s_waitcnt vmcnt(0)
	buffer_store_dword v37, v31, s[0:3], 0 offen
	s_or_b32 exec_lo, exec_lo, s8
	s_and_saveexec_b32 s8, s7
	s_cbranch_execz .LBB4_106
.LBB4_112:                              ;   in Loop: Header=BB4_107 Depth=1
	buffer_store_dword v108, v33, s[0:3], 0 offen
	s_branch .LBB4_106
.LBB4_113:
	s_or_b32 exec_lo, exec_lo, s6
	s_and_saveexec_b32 s4, s5
	s_cbranch_execz .LBB4_115
; %bb.114:
	v_max_f64 v[26:27], v[26:27], v[26:27]
	v_max_f64 v[28:29], v[28:29], v[28:29]
	v_min_f64 v[26:27], v[28:29], v[26:27]
	v_lshl_add_u32 v28, v34, 2, 0
	v_lshl_add_u32 v29, v36, 2, 0
	v_cmp_ngt_f64_e32 vcc_lo, 0, v[26:27]
	v_lshl_add_u32 v27, v32, 2, 0
	v_cndmask_b32_e32 v26, -1, v35, vcc_lo
	buffer_store_dword v36, v28, s[0:3], 0 offen
	buffer_store_dword v32, v29, s[0:3], 0 offen
	;; [unrolled: 1-line block ×3, first 2 shown]
.LBB4_115:
	s_or_b32 exec_lo, exec_lo, s4
	buffer_load_dword v26, off, s[0:3], 0 offset:88
	s_mov_b32 s12, exec_lo
	s_waitcnt vmcnt(0)
	v_cmpx_lt_i32_e32 -1, v26
	s_cbranch_execz .LBB4_119
; %bb.116:
	v_mov_b32_e32 v27, v26
	s_mov_b32 s13, 0
.LBB4_117:                              ; =>This Inner Loop Header: Depth=1
	v_lshl_add_u32 v33, v27, 2, 0
	v_cmp_eq_u32_e32 vcc_lo, 1, v27
	v_cmp_eq_u32_e64 s4, 2, v27
	v_cmp_eq_u32_e64 s5, 3, v27
	;; [unrolled: 1-line block ×8, first 2 shown]
	buffer_load_dword v27, v33, s[0:3], 0 offen
	v_cndmask_b32_e32 v28, v83, v81, vcc_lo
	v_cndmask_b32_e32 v29, v82, v80, vcc_lo
	;; [unrolled: 1-line block ×4, first 2 shown]
	v_cndmask_b32_e64 v28, v28, v79, s4
	v_cndmask_b32_e64 v29, v29, v78, s4
	;; [unrolled: 1-line block ×27, first 2 shown]
	v_add_f64 v[28:29], -v[28:29], 1.0
	v_cndmask_b32_e64 v30, v32, v16, s10
	v_add_f64 v[28:29], v[28:29], -v[30:31]
	v_cndmask_b32_e64 v85, v85, v29, s4
	v_cndmask_b32_e64 v84, v84, v28, s4
	;; [unrolled: 1-line block ×14, first 2 shown]
	v_cndmask_b32_e32 v87, v87, v29, vcc_lo
	v_cndmask_b32_e32 v86, v86, v28, vcc_lo
	v_cndmask_b32_e64 v89, v89, v29, s11
	v_cndmask_b32_e64 v88, v88, v28, s11
	s_waitcnt vmcnt(0)
	v_cmp_gt_i32_e64 s4, 0, v27
	s_or_b32 s13, s4, s13
	s_andn2_b32 exec_lo, exec_lo, s13
	s_cbranch_execnz .LBB4_117
; %bb.118:
	s_or_b32 exec_lo, exec_lo, s13
.LBB4_119:
	s_or_b32 exec_lo, exec_lo, s12
	s_mov_b32 s12, exec_lo
	v_cmpx_lt_i32_e32 -1, v26
	s_cbranch_execz .LBB4_125
; %bb.120:
	v_lshl_add_u32 v27, v26, 2, 0
	s_mov_b32 s13, exec_lo
	buffer_load_dword v30, v27, s[0:3], 0 offen
	s_waitcnt vmcnt(0)
	v_lshl_add_u32 v27, v30, 2, 0
	buffer_load_dword v48, v27, s[0:3], 0 offen
	s_waitcnt vmcnt(0)
	v_cmpx_lt_i32_e32 -1, v48
	s_cbranch_execz .LBB4_124
; %bb.121:
	v_cmp_eq_u32_e32 vcc_lo, 1, v26
	v_cmp_eq_u32_e64 s4, 2, v26
	v_cmp_eq_u32_e64 s5, 4, v26
	;; [unrolled: 1-line block ×4, first 2 shown]
	v_cndmask_b32_e32 v28, v82, v80, vcc_lo
	v_cndmask_b32_e32 v27, v83, v81, vcc_lo
	v_cndmask_b32_e32 v29, v1, v3, vcc_lo
	v_cndmask_b32_e32 v31, v0, v2, vcc_lo
	v_cndmask_b32_e32 v32, v89, v87, vcc_lo
	v_cndmask_b32_e32 v33, v88, v86, vcc_lo
	v_cmp_eq_u32_e32 vcc_lo, 3, v26
	v_cndmask_b32_e64 v28, v28, v78, s4
	v_cndmask_b32_e64 v31, v31, v4, s4
	;; [unrolled: 1-line block ×5, first 2 shown]
	v_cndmask_b32_e32 v28, v28, v90, vcc_lo
	v_cndmask_b32_e64 v33, v33, v84, s4
	v_cndmask_b32_e32 v31, v31, v6, vcc_lo
	v_cndmask_b32_e32 v32, v32, v101, vcc_lo
	;; [unrolled: 1-line block ×3, first 2 shown]
	v_cndmask_b32_e64 v28, v28, v92, s5
	v_cndmask_b32_e32 v29, v29, v7, vcc_lo
	v_cmp_eq_u32_e64 s4, 6, v26
	v_cmp_eq_u32_e64 s8, 8, v26
	v_cndmask_b32_e64 v26, v31, v8, s5
	v_cndmask_b32_e64 v28, v28, v127, s6
	;; [unrolled: 1-line block ×3, first 2 shown]
	v_cndmask_b32_e32 v32, v33, v100, vcc_lo
	v_cndmask_b32_e64 v27, v27, v93, s5
	v_cndmask_b32_e64 v29, v29, v9, s5
	;; [unrolled: 1-line block ×10, first 2 shown]
	v_cmp_eq_u32_e32 vcc_lo, 1, v30
	v_cndmask_b32_e64 v27, v27, v114, s4
	v_cndmask_b32_e64 v29, v29, v13, s4
	;; [unrolled: 1-line block ×5, first 2 shown]
	v_cndmask_b32_e32 v33, v1, v3, vcc_lo
	v_cndmask_b32_e64 v32, v32, v121, s4
	v_cmp_eq_u32_e64 s4, 2, v30
	v_cmp_eq_u32_e64 s5, 3, v30
	v_cndmask_b32_e32 v35, v83, v81, vcc_lo
	v_cndmask_b32_e32 v36, v82, v80, vcc_lo
	v_cndmask_b32_e64 v34, v32, v122, s7
	v_cndmask_b32_e64 v33, v33, v5, s4
	v_cmp_eq_u32_e64 s6, 4, v30
	v_cndmask_b32_e64 v27, v27, v113, s7
	v_cndmask_b32_e64 v29, v29, v15, s7
	;; [unrolled: 1-line block ×4, first 2 shown]
	v_cndmask_b32_e32 v33, v0, v2, vcc_lo
	v_cndmask_b32_e64 v31, v31, v119, s7
	v_cndmask_b32_e64 v35, v35, v79, s4
	;; [unrolled: 1-line block ×5, first 2 shown]
	v_cmp_eq_u32_e64 s7, 5, v30
	v_cndmask_b32_e64 v35, v35, v91, s5
	v_cndmask_b32_e64 v36, v36, v90, s5
	v_cmp_eq_u32_e64 s9, 6, v30
	v_cndmask_b32_e64 v33, v33, v6, s5
	v_cndmask_b32_e64 v32, v32, v11, s7
	v_cndmask_b32_e64 v35, v35, v93, s6
	v_cndmask_b32_e64 v36, v36, v92, s6
	v_cmp_eq_u32_e64 s10, 7, v30
	v_cndmask_b32_e64 v33, v33, v8, s6
	v_cndmask_b32_e64 v32, v32, v13, s9
	;; [unrolled: 5-line block ×3, first 2 shown]
	v_cndmask_b32_e64 v27, v27, v112, s8
	v_cndmask_b32_e64 v29, v29, v17, s8
	;; [unrolled: 1-line block ×7, first 2 shown]
	v_cndmask_b32_e32 v36, v89, v87, vcc_lo
	v_cndmask_b32_e32 v37, v88, v86, vcc_lo
	v_cndmask_b32_e64 v30, v30, v14, s10
	v_cndmask_b32_e64 v38, v32, v113, s10
	;; [unrolled: 1-line block ×12, first 2 shown]
	v_add_f64 v[46:47], v[32:33], -v[28:29]
	v_cndmask_b32_e64 v44, v35, v103, s6
	v_cndmask_b32_e64 v45, v36, v102, s6
	v_add_f64 v[42:43], v[40:41], -v[26:27]
	v_mul_f64 v[34:35], v[26:27], v[30:31]
	v_mul_f64 v[36:37], v[28:29], v[30:31]
	;; [unrolled: 1-line block ×3, first 2 shown]
	v_cndmask_b32_e64 v44, v44, v118, s7
	v_cndmask_b32_e64 v45, v45, v120, s7
	;; [unrolled: 1-line block ×8, first 2 shown]
	s_mov_b32 s11, 0
.LBB4_122:                              ; =>This Inner Loop Header: Depth=1
	v_lshl_add_u32 v94, v48, 2, 0
	v_cmp_eq_u32_e32 vcc_lo, 1, v48
	v_cmp_eq_u32_e64 s4, 2, v48
	v_cmp_eq_u32_e64 s5, 3, v48
	;; [unrolled: 1-line block ×7, first 2 shown]
	buffer_load_dword v48, v94, s[0:3], 0 offen
	v_cndmask_b32_e32 v49, v83, v81, vcc_lo
	v_cndmask_b32_e32 v104, v82, v80, vcc_lo
	;; [unrolled: 1-line block ×5, first 2 shown]
	v_cndmask_b32_e64 v49, v49, v79, s4
	v_cndmask_b32_e64 v104, v104, v78, s4
	;; [unrolled: 1-line block ×3, first 2 shown]
	v_cndmask_b32_e32 v108, v88, v86, vcc_lo
	v_cndmask_b32_e64 v106, v106, v4, s4
	v_cndmask_b32_e64 v49, v49, v91, s5
	;; [unrolled: 1-line block ×18, first 2 shown]
	v_add_f64 v[94:95], v[30:31], v[44:45]
	v_fma_f64 v[98:99], v[44:45], v[44:45], v[38:39]
	v_cndmask_b32_e64 v130, v129, v118, s7
	v_cndmask_b32_e64 v49, v49, v113, s9
	;; [unrolled: 1-line block ×3, first 2 shown]
	v_add_f64 v[96:97], v[26:27], v[40:41]
	v_add_f64 v[132:133], v[28:29], v[32:33]
	v_cndmask_b32_e64 v130, v130, v116, s8
	v_cndmask_b32_e64 v105, v49, v112, s10
	;; [unrolled: 1-line block ×7, first 2 shown]
	v_add_f64 v[106:107], v[104:105], -v[26:27]
	v_cndmask_b32_e64 v49, v49, v120, s7
	v_cndmask_b32_e64 v108, v108, v13, s8
	;; [unrolled: 1-line block ×4, first 2 shown]
	v_fma_f64 v[40:41], v[40:41], v[44:45], v[34:35]
	v_cndmask_b32_e64 v49, v49, v121, s8
	v_cndmask_b32_e64 v108, v108, v15, s9
	v_cndmask_b32_e64 v128, v109, v14, s9
	v_fma_f64 v[32:33], v[32:33], v[44:45], v[36:37]
	v_cndmask_b32_e64 v49, v49, v122, s9
	v_cndmask_b32_e64 v109, v108, v17, s10
	v_cndmask_b32_e64 v108, v128, v16, s10
	v_cndmask_b32_e64 v130, v49, v123, s10
	v_add_f64 v[128:129], v[108:109], -v[28:29]
	v_add_f64 v[94:95], v[130:131], v[94:95]
	v_mul_f64 v[46:47], v[106:107], v[46:47]
	v_fma_f64 v[98:99], v[130:131], v[130:131], v[98:99]
	v_fma_f64 v[40:41], v[130:131], v[104:105], v[40:41]
	;; [unrolled: 1-line block ×3, first 2 shown]
	v_fma_f64 v[42:43], v[128:129], v[42:43], -v[46:47]
	v_add_f64 v[46:47], v[96:97], v[104:105]
	v_add_f64 v[96:97], v[108:109], v[132:133]
	v_fma_f64 v[98:99], v[30:31], v[44:45], v[98:99]
	v_mul_f64 v[132:133], v[94:95], v[42:43]
	v_fma_f64 v[22:23], v[94:95], v[42:43], v[22:23]
	v_fma_f64 v[98:99], v[30:31], v[130:131], v[98:99]
	v_mul_f64 v[46:47], v[46:47], v[132:133]
	v_mul_f64 v[96:97], v[96:97], v[132:133]
	v_fma_f64 v[44:45], v[130:131], v[44:45], v[98:99]
	v_fma_f64 v[40:41], v[40:41], v[42:43], v[46:47]
	;; [unrolled: 1-line block ×3, first 2 shown]
	v_mov_b32_e32 v46, v128
	v_fma_f64 v[18:19], v[42:43], v[44:45], v[18:19]
	v_mov_b32_e32 v42, v106
	v_mov_b32_e32 v44, v130
	;; [unrolled: 1-line block ×5, first 2 shown]
	v_add_f64 v[24:25], v[24:25], v[40:41]
	v_add_f64 v[20:21], v[20:21], v[32:33]
	v_mov_b32_e32 v40, v104
	v_mov_b32_e32 v32, v108
	;; [unrolled: 1-line block ×4, first 2 shown]
	s_waitcnt vmcnt(0)
	v_cmp_gt_i32_e32 vcc_lo, 0, v48
	s_or_b32 s11, vcc_lo, s11
	s_andn2_b32 exec_lo, exec_lo, s11
	s_cbranch_execnz .LBB4_122
; %bb.123:
	s_or_b32 exec_lo, exec_lo, s11
.LBB4_124:
	s_or_b32 exec_lo, exec_lo, s13
.LBB4_125:
	s_or_b32 exec_lo, exec_lo, s12
	s_mov_b32 s5, 0x3fc55555
	s_mov_b32 s4, 0x55555555
	v_mul_f64 v[0:1], v[22:23], s[4:5]
	s_mov_b32 s5, 0x3fa55555
	v_mul_f64 v[2:3], v[24:25], s[4:5]
	v_mul_f64 v[8:9], v[20:21], s[4:5]
	v_mul_f64 v[10:11], v[18:19], s[4:5]
	v_fma_f64 v[24:25], v[72:73], v[0:1], 0
	v_mul_f64 v[4:5], v[60:61], v[2:3]
	v_mul_f64 v[6:7], v[76:77], v[2:3]
	;; [unrolled: 1-line block ×3, first 2 shown]
	v_fma_f64 v[4:5], v[58:59], v[0:1], v[4:5]
	v_fma_f64 v[6:7], v[50:51], v[0:1], v[6:7]
	;; [unrolled: 1-line block ×12, first 2 shown]
.LBB4_126:
	s_or_b32 exec_lo, exec_lo, s50
	v_mad_u64_u32 v[14:15], null, 0x48, v56, 0
	v_mov_b32_e32 v4, 0
	v_mov_b32_e32 v2, v24
	;; [unrolled: 1-line block ×11, first 2 shown]
	v_mad_u64_u32 v[6:7], null, 0x48, v57, v[0:1]
	v_and_b32_e32 v0, 0xffffffc0, v110
	v_mov_b32_e32 v1, v111
	v_mov_b32_e32 v13, 0
	;; [unrolled: 1-line block ×6, first 2 shown]
	v_cmp_gt_i64_e32 vcc_lo, v[14:15], v[0:1]
	v_mov_b32_e32 v14, v20
	v_mov_b32_e32 v15, v21
	s_and_saveexec_b32 s4, vcc_lo
	s_cbranch_execz .LBB4_128
; %bb.127:
	v_mov_b32_e32 v2, 0
	v_mov_b32_e32 v6, 0
	v_mov_b32_e32 v8, 0
	v_mov_b32_e32 v14, 0
	v_mov_b32_e32 v4, v20
	v_mov_b32_e32 v10, v22
	v_mov_b32_e32 v12, v18
	v_mov_b32_e32 v16, v24
	v_mov_b32_e32 v3, 0
	v_mov_b32_e32 v7, 0
	v_mov_b32_e32 v9, 0
	v_mov_b32_e32 v15, 0
	v_mov_b32_e32 v5, v21
	v_mov_b32_e32 v11, v23
	v_mov_b32_e32 v13, v19
	v_mov_b32_e32 v17, v25
.LBB4_128:
	s_or_b32 exec_lo, exec_lo, s4
	v_mbcnt_lo_u32_b32 v18, -1, 0
	s_mov_b64 s[4:5], 1
	s_waitcnt_vscnt null, 0x0
	s_barrier
	buffer_gl0_inv
.LBB4_129:                              ; =>This Inner Loop Header: Depth=1
	v_xor_b32_e32 v19, s4, v18
	v_cmp_gt_u64_e64 s6, s[4:5], 31
	s_lshl_b64 s[4:5], s[4:5], 1
	v_cmp_gt_i32_e32 vcc_lo, 32, v19
	v_cndmask_b32_e32 v19, v18, v19, vcc_lo
	s_and_b32 vcc_lo, exec_lo, s6
	v_lshlrev_b32_e32 v34, 2, v19
	ds_bpermute_b32 v19, v34, v16
	ds_bpermute_b32 v20, v34, v17
	;; [unrolled: 1-line block ×16, first 2 shown]
	s_waitcnt lgkmcnt(14)
	v_add_f64 v[16:17], v[16:17], v[19:20]
	s_waitcnt lgkmcnt(12)
	v_add_f64 v[12:13], v[12:13], v[21:22]
	;; [unrolled: 2-line block ×8, first 2 shown]
	s_cbranch_vccz .LBB4_129
; %bb.130:
	v_and_b32_e32 v18, 63, v110
	v_mov_b32_e32 v19, 0
	s_mov_b32 s4, exec_lo
	v_cmpx_eq_u64_e32 0, v[18:19]
	s_cbranch_execz .LBB4_132
; %bb.131:
	ds_write2_b64 v19, v[2:3], v[6:7] offset1:2
	ds_write2_b64 v19, v[8:9], v[14:15] offset0:4 offset1:6
	ds_write2_b64 v19, v[16:17], v[12:13] offset0:8 offset1:10
	;; [unrolled: 1-line block ×3, first 2 shown]
.LBB4_132:
	s_or_b32 exec_lo, exec_lo, s4
	v_cmp_gt_u64_e32 vcc_lo, 8, v[18:19]
	s_waitcnt lgkmcnt(0)
	s_barrier
	buffer_gl0_inv
	s_and_b32 exec_lo, exec_lo, vcc_lo
	s_cbranch_execz .LBB4_134
; %bb.133:
	v_lshlrev_b32_e32 v2, 4, v18
	v_lshlrev_b32_e32 v4, 3, v18
	v_add_co_u32 v0, vcc_lo, s48, v0
	v_add_co_ci_u32_e64 v1, null, s49, v1, vcc_lo
	ds_read_b64 v[2:3], v2
	v_add_co_u32 v0, vcc_lo, v0, v4
	v_add_co_ci_u32_e64 v1, null, 0, v1, vcc_lo
	s_waitcnt lgkmcnt(0)
	global_store_dwordx2 v[0:1], v[2:3], off
.LBB4_134:
	s_endpgm
	.section	.rodata,"a",@progbits
	.p2align	6, 0x0
	.amdhsa_kernel _ZN4RAJA6policy3hip4impl18forallp_hip_kernelINS1_8hip_execINS_17iteration_mapping6DirectENS_3hip11IndexGlobalILNS_9named_dimE0ELi64ELi0EEENS7_40AvoidDeviceMaxThreadOccupancyConcretizerINS7_34FractionOffsetOccupancyConcretizerINS_8FractionImLm1ELm1EEELln1EEEEELb1EEENS_9Iterators16numeric_iteratorIllPlEEZN8rajaperf4apps12INTSC_HEXHEX17runHipVariantImplILm64EEEvNSM_9VariantIDEEUllE1_lNS_4expt15ForallParamPackIJEEES6_SA_TnNSt9enable_ifIXaasr3std10is_base_ofINS5_10DirectBaseET4_EE5valuegtsrT5_10block_sizeLi0EEmE4typeELm64EEEvT1_T0_T2_T3_
		.amdhsa_group_segment_fixed_size 128
		.amdhsa_private_segment_fixed_size 112
		.amdhsa_kernarg_size 52
		.amdhsa_user_sgpr_count 6
		.amdhsa_user_sgpr_private_segment_buffer 1
		.amdhsa_user_sgpr_dispatch_ptr 0
		.amdhsa_user_sgpr_queue_ptr 0
		.amdhsa_user_sgpr_kernarg_segment_ptr 1
		.amdhsa_user_sgpr_dispatch_id 0
		.amdhsa_user_sgpr_flat_scratch_init 0
		.amdhsa_user_sgpr_private_segment_size 0
		.amdhsa_wavefront_size32 1
		.amdhsa_uses_dynamic_stack 0
		.amdhsa_system_sgpr_private_segment_wavefront_offset 1
		.amdhsa_system_sgpr_workgroup_id_x 1
		.amdhsa_system_sgpr_workgroup_id_y 0
		.amdhsa_system_sgpr_workgroup_id_z 0
		.amdhsa_system_sgpr_workgroup_info 0
		.amdhsa_system_vgpr_workitem_id 0
		.amdhsa_next_free_vgpr 156
		.amdhsa_next_free_sgpr 53
		.amdhsa_reserve_vcc 1
		.amdhsa_reserve_flat_scratch 0
		.amdhsa_float_round_mode_32 0
		.amdhsa_float_round_mode_16_64 0
		.amdhsa_float_denorm_mode_32 3
		.amdhsa_float_denorm_mode_16_64 3
		.amdhsa_dx10_clamp 1
		.amdhsa_ieee_mode 1
		.amdhsa_fp16_overflow 0
		.amdhsa_workgroup_processor_mode 1
		.amdhsa_memory_ordered 1
		.amdhsa_forward_progress 1
		.amdhsa_shared_vgpr_count 0
		.amdhsa_exception_fp_ieee_invalid_op 0
		.amdhsa_exception_fp_denorm_src 0
		.amdhsa_exception_fp_ieee_div_zero 0
		.amdhsa_exception_fp_ieee_overflow 0
		.amdhsa_exception_fp_ieee_underflow 0
		.amdhsa_exception_fp_ieee_inexact 0
		.amdhsa_exception_int_div_zero 0
	.end_amdhsa_kernel
	.section	.text._ZN4RAJA6policy3hip4impl18forallp_hip_kernelINS1_8hip_execINS_17iteration_mapping6DirectENS_3hip11IndexGlobalILNS_9named_dimE0ELi64ELi0EEENS7_40AvoidDeviceMaxThreadOccupancyConcretizerINS7_34FractionOffsetOccupancyConcretizerINS_8FractionImLm1ELm1EEELln1EEEEELb1EEENS_9Iterators16numeric_iteratorIllPlEEZN8rajaperf4apps12INTSC_HEXHEX17runHipVariantImplILm64EEEvNSM_9VariantIDEEUllE1_lNS_4expt15ForallParamPackIJEEES6_SA_TnNSt9enable_ifIXaasr3std10is_base_ofINS5_10DirectBaseET4_EE5valuegtsrT5_10block_sizeLi0EEmE4typeELm64EEEvT1_T0_T2_T3_,"axG",@progbits,_ZN4RAJA6policy3hip4impl18forallp_hip_kernelINS1_8hip_execINS_17iteration_mapping6DirectENS_3hip11IndexGlobalILNS_9named_dimE0ELi64ELi0EEENS7_40AvoidDeviceMaxThreadOccupancyConcretizerINS7_34FractionOffsetOccupancyConcretizerINS_8FractionImLm1ELm1EEELln1EEEEELb1EEENS_9Iterators16numeric_iteratorIllPlEEZN8rajaperf4apps12INTSC_HEXHEX17runHipVariantImplILm64EEEvNSM_9VariantIDEEUllE1_lNS_4expt15ForallParamPackIJEEES6_SA_TnNSt9enable_ifIXaasr3std10is_base_ofINS5_10DirectBaseET4_EE5valuegtsrT5_10block_sizeLi0EEmE4typeELm64EEEvT1_T0_T2_T3_,comdat
.Lfunc_end4:
	.size	_ZN4RAJA6policy3hip4impl18forallp_hip_kernelINS1_8hip_execINS_17iteration_mapping6DirectENS_3hip11IndexGlobalILNS_9named_dimE0ELi64ELi0EEENS7_40AvoidDeviceMaxThreadOccupancyConcretizerINS7_34FractionOffsetOccupancyConcretizerINS_8FractionImLm1ELm1EEELln1EEEEELb1EEENS_9Iterators16numeric_iteratorIllPlEEZN8rajaperf4apps12INTSC_HEXHEX17runHipVariantImplILm64EEEvNSM_9VariantIDEEUllE1_lNS_4expt15ForallParamPackIJEEES6_SA_TnNSt9enable_ifIXaasr3std10is_base_ofINS5_10DirectBaseET4_EE5valuegtsrT5_10block_sizeLi0EEmE4typeELm64EEEvT1_T0_T2_T3_, .Lfunc_end4-_ZN4RAJA6policy3hip4impl18forallp_hip_kernelINS1_8hip_execINS_17iteration_mapping6DirectENS_3hip11IndexGlobalILNS_9named_dimE0ELi64ELi0EEENS7_40AvoidDeviceMaxThreadOccupancyConcretizerINS7_34FractionOffsetOccupancyConcretizerINS_8FractionImLm1ELm1EEELln1EEEEELb1EEENS_9Iterators16numeric_iteratorIllPlEEZN8rajaperf4apps12INTSC_HEXHEX17runHipVariantImplILm64EEEvNSM_9VariantIDEEUllE1_lNS_4expt15ForallParamPackIJEEES6_SA_TnNSt9enable_ifIXaasr3std10is_base_ofINS5_10DirectBaseET4_EE5valuegtsrT5_10block_sizeLi0EEmE4typeELm64EEEvT1_T0_T2_T3_
                                        ; -- End function
	.set _ZN4RAJA6policy3hip4impl18forallp_hip_kernelINS1_8hip_execINS_17iteration_mapping6DirectENS_3hip11IndexGlobalILNS_9named_dimE0ELi64ELi0EEENS7_40AvoidDeviceMaxThreadOccupancyConcretizerINS7_34FractionOffsetOccupancyConcretizerINS_8FractionImLm1ELm1EEELln1EEEEELb1EEENS_9Iterators16numeric_iteratorIllPlEEZN8rajaperf4apps12INTSC_HEXHEX17runHipVariantImplILm64EEEvNSM_9VariantIDEEUllE1_lNS_4expt15ForallParamPackIJEEES6_SA_TnNSt9enable_ifIXaasr3std10is_base_ofINS5_10DirectBaseET4_EE5valuegtsrT5_10block_sizeLi0EEmE4typeELm64EEEvT1_T0_T2_T3_.num_vgpr, 156
	.set _ZN4RAJA6policy3hip4impl18forallp_hip_kernelINS1_8hip_execINS_17iteration_mapping6DirectENS_3hip11IndexGlobalILNS_9named_dimE0ELi64ELi0EEENS7_40AvoidDeviceMaxThreadOccupancyConcretizerINS7_34FractionOffsetOccupancyConcretizerINS_8FractionImLm1ELm1EEELln1EEEEELb1EEENS_9Iterators16numeric_iteratorIllPlEEZN8rajaperf4apps12INTSC_HEXHEX17runHipVariantImplILm64EEEvNSM_9VariantIDEEUllE1_lNS_4expt15ForallParamPackIJEEES6_SA_TnNSt9enable_ifIXaasr3std10is_base_ofINS5_10DirectBaseET4_EE5valuegtsrT5_10block_sizeLi0EEmE4typeELm64EEEvT1_T0_T2_T3_.num_agpr, 0
	.set _ZN4RAJA6policy3hip4impl18forallp_hip_kernelINS1_8hip_execINS_17iteration_mapping6DirectENS_3hip11IndexGlobalILNS_9named_dimE0ELi64ELi0EEENS7_40AvoidDeviceMaxThreadOccupancyConcretizerINS7_34FractionOffsetOccupancyConcretizerINS_8FractionImLm1ELm1EEELln1EEEEELb1EEENS_9Iterators16numeric_iteratorIllPlEEZN8rajaperf4apps12INTSC_HEXHEX17runHipVariantImplILm64EEEvNSM_9VariantIDEEUllE1_lNS_4expt15ForallParamPackIJEEES6_SA_TnNSt9enable_ifIXaasr3std10is_base_ofINS5_10DirectBaseET4_EE5valuegtsrT5_10block_sizeLi0EEmE4typeELm64EEEvT1_T0_T2_T3_.numbered_sgpr, 53
	.set _ZN4RAJA6policy3hip4impl18forallp_hip_kernelINS1_8hip_execINS_17iteration_mapping6DirectENS_3hip11IndexGlobalILNS_9named_dimE0ELi64ELi0EEENS7_40AvoidDeviceMaxThreadOccupancyConcretizerINS7_34FractionOffsetOccupancyConcretizerINS_8FractionImLm1ELm1EEELln1EEEEELb1EEENS_9Iterators16numeric_iteratorIllPlEEZN8rajaperf4apps12INTSC_HEXHEX17runHipVariantImplILm64EEEvNSM_9VariantIDEEUllE1_lNS_4expt15ForallParamPackIJEEES6_SA_TnNSt9enable_ifIXaasr3std10is_base_ofINS5_10DirectBaseET4_EE5valuegtsrT5_10block_sizeLi0EEmE4typeELm64EEEvT1_T0_T2_T3_.num_named_barrier, 0
	.set _ZN4RAJA6policy3hip4impl18forallp_hip_kernelINS1_8hip_execINS_17iteration_mapping6DirectENS_3hip11IndexGlobalILNS_9named_dimE0ELi64ELi0EEENS7_40AvoidDeviceMaxThreadOccupancyConcretizerINS7_34FractionOffsetOccupancyConcretizerINS_8FractionImLm1ELm1EEELln1EEEEELb1EEENS_9Iterators16numeric_iteratorIllPlEEZN8rajaperf4apps12INTSC_HEXHEX17runHipVariantImplILm64EEEvNSM_9VariantIDEEUllE1_lNS_4expt15ForallParamPackIJEEES6_SA_TnNSt9enable_ifIXaasr3std10is_base_ofINS5_10DirectBaseET4_EE5valuegtsrT5_10block_sizeLi0EEmE4typeELm64EEEvT1_T0_T2_T3_.private_seg_size, 112
	.set _ZN4RAJA6policy3hip4impl18forallp_hip_kernelINS1_8hip_execINS_17iteration_mapping6DirectENS_3hip11IndexGlobalILNS_9named_dimE0ELi64ELi0EEENS7_40AvoidDeviceMaxThreadOccupancyConcretizerINS7_34FractionOffsetOccupancyConcretizerINS_8FractionImLm1ELm1EEELln1EEEEELb1EEENS_9Iterators16numeric_iteratorIllPlEEZN8rajaperf4apps12INTSC_HEXHEX17runHipVariantImplILm64EEEvNSM_9VariantIDEEUllE1_lNS_4expt15ForallParamPackIJEEES6_SA_TnNSt9enable_ifIXaasr3std10is_base_ofINS5_10DirectBaseET4_EE5valuegtsrT5_10block_sizeLi0EEmE4typeELm64EEEvT1_T0_T2_T3_.uses_vcc, 1
	.set _ZN4RAJA6policy3hip4impl18forallp_hip_kernelINS1_8hip_execINS_17iteration_mapping6DirectENS_3hip11IndexGlobalILNS_9named_dimE0ELi64ELi0EEENS7_40AvoidDeviceMaxThreadOccupancyConcretizerINS7_34FractionOffsetOccupancyConcretizerINS_8FractionImLm1ELm1EEELln1EEEEELb1EEENS_9Iterators16numeric_iteratorIllPlEEZN8rajaperf4apps12INTSC_HEXHEX17runHipVariantImplILm64EEEvNSM_9VariantIDEEUllE1_lNS_4expt15ForallParamPackIJEEES6_SA_TnNSt9enable_ifIXaasr3std10is_base_ofINS5_10DirectBaseET4_EE5valuegtsrT5_10block_sizeLi0EEmE4typeELm64EEEvT1_T0_T2_T3_.uses_flat_scratch, 0
	.set _ZN4RAJA6policy3hip4impl18forallp_hip_kernelINS1_8hip_execINS_17iteration_mapping6DirectENS_3hip11IndexGlobalILNS_9named_dimE0ELi64ELi0EEENS7_40AvoidDeviceMaxThreadOccupancyConcretizerINS7_34FractionOffsetOccupancyConcretizerINS_8FractionImLm1ELm1EEELln1EEEEELb1EEENS_9Iterators16numeric_iteratorIllPlEEZN8rajaperf4apps12INTSC_HEXHEX17runHipVariantImplILm64EEEvNSM_9VariantIDEEUllE1_lNS_4expt15ForallParamPackIJEEES6_SA_TnNSt9enable_ifIXaasr3std10is_base_ofINS5_10DirectBaseET4_EE5valuegtsrT5_10block_sizeLi0EEmE4typeELm64EEEvT1_T0_T2_T3_.has_dyn_sized_stack, 0
	.set _ZN4RAJA6policy3hip4impl18forallp_hip_kernelINS1_8hip_execINS_17iteration_mapping6DirectENS_3hip11IndexGlobalILNS_9named_dimE0ELi64ELi0EEENS7_40AvoidDeviceMaxThreadOccupancyConcretizerINS7_34FractionOffsetOccupancyConcretizerINS_8FractionImLm1ELm1EEELln1EEEEELb1EEENS_9Iterators16numeric_iteratorIllPlEEZN8rajaperf4apps12INTSC_HEXHEX17runHipVariantImplILm64EEEvNSM_9VariantIDEEUllE1_lNS_4expt15ForallParamPackIJEEES6_SA_TnNSt9enable_ifIXaasr3std10is_base_ofINS5_10DirectBaseET4_EE5valuegtsrT5_10block_sizeLi0EEmE4typeELm64EEEvT1_T0_T2_T3_.has_recursion, 0
	.set _ZN4RAJA6policy3hip4impl18forallp_hip_kernelINS1_8hip_execINS_17iteration_mapping6DirectENS_3hip11IndexGlobalILNS_9named_dimE0ELi64ELi0EEENS7_40AvoidDeviceMaxThreadOccupancyConcretizerINS7_34FractionOffsetOccupancyConcretizerINS_8FractionImLm1ELm1EEELln1EEEEELb1EEENS_9Iterators16numeric_iteratorIllPlEEZN8rajaperf4apps12INTSC_HEXHEX17runHipVariantImplILm64EEEvNSM_9VariantIDEEUllE1_lNS_4expt15ForallParamPackIJEEES6_SA_TnNSt9enable_ifIXaasr3std10is_base_ofINS5_10DirectBaseET4_EE5valuegtsrT5_10block_sizeLi0EEmE4typeELm64EEEvT1_T0_T2_T3_.has_indirect_call, 0
	.section	.AMDGPU.csdata,"",@progbits
; Kernel info:
; codeLenInByte = 36140
; TotalNumSgprs: 55
; NumVgprs: 156
; ScratchSize: 112
; MemoryBound: 0
; FloatMode: 240
; IeeeMode: 1
; LDSByteSize: 128 bytes/workgroup (compile time only)
; SGPRBlocks: 0
; VGPRBlocks: 19
; NumSGPRsForWavesPerEU: 55
; NumVGPRsForWavesPerEU: 156
; Occupancy: 6
; WaveLimiterHint : 0
; COMPUTE_PGM_RSRC2:SCRATCH_EN: 1
; COMPUTE_PGM_RSRC2:USER_SGPR: 6
; COMPUTE_PGM_RSRC2:TRAP_HANDLER: 0
; COMPUTE_PGM_RSRC2:TGID_X_EN: 1
; COMPUTE_PGM_RSRC2:TGID_Y_EN: 0
; COMPUTE_PGM_RSRC2:TGID_Z_EN: 0
; COMPUTE_PGM_RSRC2:TIDIG_COMP_CNT: 0
	.section	.text._ZN4RAJA6policy3hip4impl18forallp_hip_kernelINS1_8hip_execINS_17iteration_mapping6DirectENS_3hip11IndexGlobalILNS_9named_dimE0ELi64ELi0EEENS7_40AvoidDeviceMaxThreadOccupancyConcretizerINS7_34FractionOffsetOccupancyConcretizerINS_8FractionImLm1ELm1EEELln1EEEEELb1EEENS_9Iterators16numeric_iteratorIllPlEEZN8rajaperf4apps12INTSC_HEXHEX17runHipVariantImplILm64EEEvNSM_9VariantIDEEUllE2_lNS_4expt15ForallParamPackIJEEES6_SA_TnNSt9enable_ifIXaasr3std10is_base_ofINS5_10DirectBaseET4_EE5valuegtsrT5_10block_sizeLi0EEmE4typeELm64EEEvT1_T0_T2_T3_,"axG",@progbits,_ZN4RAJA6policy3hip4impl18forallp_hip_kernelINS1_8hip_execINS_17iteration_mapping6DirectENS_3hip11IndexGlobalILNS_9named_dimE0ELi64ELi0EEENS7_40AvoidDeviceMaxThreadOccupancyConcretizerINS7_34FractionOffsetOccupancyConcretizerINS_8FractionImLm1ELm1EEELln1EEEEELb1EEENS_9Iterators16numeric_iteratorIllPlEEZN8rajaperf4apps12INTSC_HEXHEX17runHipVariantImplILm64EEEvNSM_9VariantIDEEUllE2_lNS_4expt15ForallParamPackIJEEES6_SA_TnNSt9enable_ifIXaasr3std10is_base_ofINS5_10DirectBaseET4_EE5valuegtsrT5_10block_sizeLi0EEmE4typeELm64EEEvT1_T0_T2_T3_,comdat
	.protected	_ZN4RAJA6policy3hip4impl18forallp_hip_kernelINS1_8hip_execINS_17iteration_mapping6DirectENS_3hip11IndexGlobalILNS_9named_dimE0ELi64ELi0EEENS7_40AvoidDeviceMaxThreadOccupancyConcretizerINS7_34FractionOffsetOccupancyConcretizerINS_8FractionImLm1ELm1EEELln1EEEEELb1EEENS_9Iterators16numeric_iteratorIllPlEEZN8rajaperf4apps12INTSC_HEXHEX17runHipVariantImplILm64EEEvNSM_9VariantIDEEUllE2_lNS_4expt15ForallParamPackIJEEES6_SA_TnNSt9enable_ifIXaasr3std10is_base_ofINS5_10DirectBaseET4_EE5valuegtsrT5_10block_sizeLi0EEmE4typeELm64EEEvT1_T0_T2_T3_ ; -- Begin function _ZN4RAJA6policy3hip4impl18forallp_hip_kernelINS1_8hip_execINS_17iteration_mapping6DirectENS_3hip11IndexGlobalILNS_9named_dimE0ELi64ELi0EEENS7_40AvoidDeviceMaxThreadOccupancyConcretizerINS7_34FractionOffsetOccupancyConcretizerINS_8FractionImLm1ELm1EEELln1EEEEELb1EEENS_9Iterators16numeric_iteratorIllPlEEZN8rajaperf4apps12INTSC_HEXHEX17runHipVariantImplILm64EEEvNSM_9VariantIDEEUllE2_lNS_4expt15ForallParamPackIJEEES6_SA_TnNSt9enable_ifIXaasr3std10is_base_ofINS5_10DirectBaseET4_EE5valuegtsrT5_10block_sizeLi0EEmE4typeELm64EEEvT1_T0_T2_T3_
	.globl	_ZN4RAJA6policy3hip4impl18forallp_hip_kernelINS1_8hip_execINS_17iteration_mapping6DirectENS_3hip11IndexGlobalILNS_9named_dimE0ELi64ELi0EEENS7_40AvoidDeviceMaxThreadOccupancyConcretizerINS7_34FractionOffsetOccupancyConcretizerINS_8FractionImLm1ELm1EEELln1EEEEELb1EEENS_9Iterators16numeric_iteratorIllPlEEZN8rajaperf4apps12INTSC_HEXHEX17runHipVariantImplILm64EEEvNSM_9VariantIDEEUllE2_lNS_4expt15ForallParamPackIJEEES6_SA_TnNSt9enable_ifIXaasr3std10is_base_ofINS5_10DirectBaseET4_EE5valuegtsrT5_10block_sizeLi0EEmE4typeELm64EEEvT1_T0_T2_T3_
	.p2align	8
	.type	_ZN4RAJA6policy3hip4impl18forallp_hip_kernelINS1_8hip_execINS_17iteration_mapping6DirectENS_3hip11IndexGlobalILNS_9named_dimE0ELi64ELi0EEENS7_40AvoidDeviceMaxThreadOccupancyConcretizerINS7_34FractionOffsetOccupancyConcretizerINS_8FractionImLm1ELm1EEELln1EEEEELb1EEENS_9Iterators16numeric_iteratorIllPlEEZN8rajaperf4apps12INTSC_HEXHEX17runHipVariantImplILm64EEEvNSM_9VariantIDEEUllE2_lNS_4expt15ForallParamPackIJEEES6_SA_TnNSt9enable_ifIXaasr3std10is_base_ofINS5_10DirectBaseET4_EE5valuegtsrT5_10block_sizeLi0EEmE4typeELm64EEEvT1_T0_T2_T3_,@function
_ZN4RAJA6policy3hip4impl18forallp_hip_kernelINS1_8hip_execINS_17iteration_mapping6DirectENS_3hip11IndexGlobalILNS_9named_dimE0ELi64ELi0EEENS7_40AvoidDeviceMaxThreadOccupancyConcretizerINS7_34FractionOffsetOccupancyConcretizerINS_8FractionImLm1ELm1EEELln1EEEEELb1EEENS_9Iterators16numeric_iteratorIllPlEEZN8rajaperf4apps12INTSC_HEXHEX17runHipVariantImplILm64EEEvNSM_9VariantIDEEUllE2_lNS_4expt15ForallParamPackIJEEES6_SA_TnNSt9enable_ifIXaasr3std10is_base_ofINS5_10DirectBaseET4_EE5valuegtsrT5_10block_sizeLi0EEmE4typeELm64EEEvT1_T0_T2_T3_: ; @_ZN4RAJA6policy3hip4impl18forallp_hip_kernelINS1_8hip_execINS_17iteration_mapping6DirectENS_3hip11IndexGlobalILNS_9named_dimE0ELi64ELi0EEENS7_40AvoidDeviceMaxThreadOccupancyConcretizerINS7_34FractionOffsetOccupancyConcretizerINS_8FractionImLm1ELm1EEELln1EEEEELb1EEENS_9Iterators16numeric_iteratorIllPlEEZN8rajaperf4apps12INTSC_HEXHEX17runHipVariantImplILm64EEEvNSM_9VariantIDEEUllE2_lNS_4expt15ForallParamPackIJEEES6_SA_TnNSt9enable_ifIXaasr3std10is_base_ofINS5_10DirectBaseET4_EE5valuegtsrT5_10block_sizeLi0EEmE4typeELm64EEEvT1_T0_T2_T3_
; %bb.0:
	s_load_dwordx2 s[0:1], s[4:5], 0x20
	s_mov_b32 s7, 0
	s_lshl_b64 s[2:3], s[6:7], 6
	v_or_b32_e32 v0, s2, v0
	v_mov_b32_e32 v1, s3
	s_waitcnt lgkmcnt(0)
	v_cmp_gt_i64_e32 vcc_lo, s[0:1], v[0:1]
	s_and_saveexec_b32 s0, vcc_lo
	s_cbranch_execz .LBB5_17
; %bb.1:
	s_load_dwordx8 s[0:7], s[4:5], 0x0
	s_waitcnt lgkmcnt(0)
	v_add_co_u32 v2, vcc_lo, v0, s6
	v_add_co_ci_u32_e64 v3, null, s7, v1, vcc_lo
	v_mad_u64_u32 v[0:1], null, 0x240, v2, s[2:3]
	v_lshlrev_b64 v[6:7], 8, v[2:3]
	v_lshlrev_b64 v[4:5], 3, v[2:3]
	v_mad_u64_u32 v[8:9], null, 0x240, v3, v[1:2]
	v_add_co_u32 v2, vcc_lo, s0, v6
	v_add_co_ci_u32_e64 v3, null, s1, v7, vcc_lo
	s_mov_b32 s0, exec_lo
	v_mov_b32_e32 v1, v8
	v_cmpx_gt_u64_e64 s[4:5], v[4:5]
	s_cbranch_execz .LBB5_3
; %bb.2:
	s_clause 0x1
	global_load_dwordx2 v[6:7], v[0:1], off
	global_load_dwordx2 v[8:9], v[0:1], off offset:64
	s_waitcnt vmcnt(0)
	v_add_f64 v[6:7], v[6:7], v[8:9]
	global_store_dwordx2 v[2:3], v[6:7], off
	s_clause 0x1
	global_load_dwordx2 v[6:7], v[0:1], off offset:8
	global_load_dwordx2 v[8:9], v[0:1], off offset:72
	s_waitcnt vmcnt(0)
	v_add_f64 v[6:7], v[6:7], v[8:9]
	global_store_dwordx2 v[2:3], v[6:7], off offset:8
	s_clause 0x1
	global_load_dwordx2 v[6:7], v[0:1], off offset:16
	global_load_dwordx2 v[8:9], v[0:1], off offset:80
	s_waitcnt vmcnt(0)
	v_add_f64 v[6:7], v[6:7], v[8:9]
	global_store_dwordx2 v[2:3], v[6:7], off offset:16
	;; [unrolled: 6-line block ×3, first 2 shown]
.LBB5_3:
	s_or_b32 exec_lo, exec_lo, s0
	v_or_b32_e32 v6, 1, v4
	v_mov_b32_e32 v7, v5
	s_mov_b32 s0, exec_lo
	v_cmpx_gt_u64_e64 s[4:5], v[6:7]
	s_cbranch_execz .LBB5_5
; %bb.4:
	s_clause 0x1
	global_load_dwordx2 v[6:7], v[0:1], off offset:96
	global_load_dwordx2 v[8:9], v[0:1], off offset:128
	s_waitcnt vmcnt(0)
	v_add_f64 v[6:7], v[6:7], v[8:9]
	global_store_dwordx2 v[2:3], v[6:7], off offset:32
	s_clause 0x1
	global_load_dwordx2 v[6:7], v[0:1], off offset:104
	global_load_dwordx2 v[8:9], v[0:1], off offset:136
	s_waitcnt vmcnt(0)
	v_add_f64 v[6:7], v[6:7], v[8:9]
	global_store_dwordx2 v[2:3], v[6:7], off offset:40
	s_clause 0x1
	global_load_dwordx2 v[6:7], v[0:1], off offset:112
	global_load_dwordx2 v[8:9], v[0:1], off offset:144
	s_waitcnt vmcnt(0)
	v_add_f64 v[6:7], v[6:7], v[8:9]
	global_store_dwordx2 v[2:3], v[6:7], off offset:48
	s_clause 0x1
	global_load_dwordx2 v[6:7], v[0:1], off offset:120
	global_load_dwordx2 v[8:9], v[0:1], off offset:152
	s_waitcnt vmcnt(0)
	v_add_f64 v[6:7], v[6:7], v[8:9]
	global_store_dwordx2 v[2:3], v[6:7], off offset:56
.LBB5_5:
	s_or_b32 exec_lo, exec_lo, s0
	v_or_b32_e32 v6, 2, v4
	v_mov_b32_e32 v7, v5
	s_mov_b32 s0, exec_lo
	v_cmpx_gt_u64_e64 s[4:5], v[6:7]
	s_cbranch_execz .LBB5_7
; %bb.6:
	s_clause 0x1
	global_load_dwordx2 v[6:7], v[0:1], off offset:160
	global_load_dwordx2 v[8:9], v[0:1], off offset:192
	s_waitcnt vmcnt(0)
	v_add_f64 v[6:7], v[6:7], v[8:9]
	global_store_dwordx2 v[2:3], v[6:7], off offset:64
	s_clause 0x1
	global_load_dwordx2 v[6:7], v[0:1], off offset:168
	global_load_dwordx2 v[8:9], v[0:1], off offset:200
	s_waitcnt vmcnt(0)
	v_add_f64 v[6:7], v[6:7], v[8:9]
	global_store_dwordx2 v[2:3], v[6:7], off offset:72
	s_clause 0x1
	global_load_dwordx2 v[6:7], v[0:1], off offset:176
	global_load_dwordx2 v[8:9], v[0:1], off offset:208
	s_waitcnt vmcnt(0)
	v_add_f64 v[6:7], v[6:7], v[8:9]
	global_store_dwordx2 v[2:3], v[6:7], off offset:80
	s_clause 0x1
	global_load_dwordx2 v[6:7], v[0:1], off offset:184
	global_load_dwordx2 v[8:9], v[0:1], off offset:216
	s_waitcnt vmcnt(0)
	v_add_f64 v[6:7], v[6:7], v[8:9]
	global_store_dwordx2 v[2:3], v[6:7], off offset:88
.LBB5_7:
	;; [unrolled: 32-line block ×6, first 2 shown]
	s_or_b32 exec_lo, exec_lo, s0
	v_or_b32_e32 v4, 7, v4
	v_cmp_gt_u64_e32 vcc_lo, s[4:5], v[4:5]
	s_and_b32 exec_lo, exec_lo, vcc_lo
	s_cbranch_execz .LBB5_17
; %bb.16:
	s_clause 0x1
	global_load_dwordx2 v[4:5], v[0:1], off offset:480
	global_load_dwordx2 v[6:7], v[0:1], off offset:512
	s_waitcnt vmcnt(0)
	v_add_f64 v[4:5], v[4:5], v[6:7]
	global_store_dwordx2 v[2:3], v[4:5], off offset:224
	s_clause 0x1
	global_load_dwordx2 v[4:5], v[0:1], off offset:488
	global_load_dwordx2 v[6:7], v[0:1], off offset:520
	s_waitcnt vmcnt(0)
	v_add_f64 v[4:5], v[4:5], v[6:7]
	global_store_dwordx2 v[2:3], v[4:5], off offset:232
	;; [unrolled: 6-line block ×4, first 2 shown]
.LBB5_17:
	s_endpgm
	.section	.rodata,"a",@progbits
	.p2align	6, 0x0
	.amdhsa_kernel _ZN4RAJA6policy3hip4impl18forallp_hip_kernelINS1_8hip_execINS_17iteration_mapping6DirectENS_3hip11IndexGlobalILNS_9named_dimE0ELi64ELi0EEENS7_40AvoidDeviceMaxThreadOccupancyConcretizerINS7_34FractionOffsetOccupancyConcretizerINS_8FractionImLm1ELm1EEELln1EEEEELb1EEENS_9Iterators16numeric_iteratorIllPlEEZN8rajaperf4apps12INTSC_HEXHEX17runHipVariantImplILm64EEEvNSM_9VariantIDEEUllE2_lNS_4expt15ForallParamPackIJEEES6_SA_TnNSt9enable_ifIXaasr3std10is_base_ofINS5_10DirectBaseET4_EE5valuegtsrT5_10block_sizeLi0EEmE4typeELm64EEEvT1_T0_T2_T3_
		.amdhsa_group_segment_fixed_size 0
		.amdhsa_private_segment_fixed_size 0
		.amdhsa_kernarg_size 44
		.amdhsa_user_sgpr_count 6
		.amdhsa_user_sgpr_private_segment_buffer 1
		.amdhsa_user_sgpr_dispatch_ptr 0
		.amdhsa_user_sgpr_queue_ptr 0
		.amdhsa_user_sgpr_kernarg_segment_ptr 1
		.amdhsa_user_sgpr_dispatch_id 0
		.amdhsa_user_sgpr_flat_scratch_init 0
		.amdhsa_user_sgpr_private_segment_size 0
		.amdhsa_wavefront_size32 1
		.amdhsa_uses_dynamic_stack 0
		.amdhsa_system_sgpr_private_segment_wavefront_offset 0
		.amdhsa_system_sgpr_workgroup_id_x 1
		.amdhsa_system_sgpr_workgroup_id_y 0
		.amdhsa_system_sgpr_workgroup_id_z 0
		.amdhsa_system_sgpr_workgroup_info 0
		.amdhsa_system_vgpr_workitem_id 0
		.amdhsa_next_free_vgpr 10
		.amdhsa_next_free_sgpr 8
		.amdhsa_reserve_vcc 1
		.amdhsa_reserve_flat_scratch 0
		.amdhsa_float_round_mode_32 0
		.amdhsa_float_round_mode_16_64 0
		.amdhsa_float_denorm_mode_32 3
		.amdhsa_float_denorm_mode_16_64 3
		.amdhsa_dx10_clamp 1
		.amdhsa_ieee_mode 1
		.amdhsa_fp16_overflow 0
		.amdhsa_workgroup_processor_mode 1
		.amdhsa_memory_ordered 1
		.amdhsa_forward_progress 1
		.amdhsa_shared_vgpr_count 0
		.amdhsa_exception_fp_ieee_invalid_op 0
		.amdhsa_exception_fp_denorm_src 0
		.amdhsa_exception_fp_ieee_div_zero 0
		.amdhsa_exception_fp_ieee_overflow 0
		.amdhsa_exception_fp_ieee_underflow 0
		.amdhsa_exception_fp_ieee_inexact 0
		.amdhsa_exception_int_div_zero 0
	.end_amdhsa_kernel
	.section	.text._ZN4RAJA6policy3hip4impl18forallp_hip_kernelINS1_8hip_execINS_17iteration_mapping6DirectENS_3hip11IndexGlobalILNS_9named_dimE0ELi64ELi0EEENS7_40AvoidDeviceMaxThreadOccupancyConcretizerINS7_34FractionOffsetOccupancyConcretizerINS_8FractionImLm1ELm1EEELln1EEEEELb1EEENS_9Iterators16numeric_iteratorIllPlEEZN8rajaperf4apps12INTSC_HEXHEX17runHipVariantImplILm64EEEvNSM_9VariantIDEEUllE2_lNS_4expt15ForallParamPackIJEEES6_SA_TnNSt9enable_ifIXaasr3std10is_base_ofINS5_10DirectBaseET4_EE5valuegtsrT5_10block_sizeLi0EEmE4typeELm64EEEvT1_T0_T2_T3_,"axG",@progbits,_ZN4RAJA6policy3hip4impl18forallp_hip_kernelINS1_8hip_execINS_17iteration_mapping6DirectENS_3hip11IndexGlobalILNS_9named_dimE0ELi64ELi0EEENS7_40AvoidDeviceMaxThreadOccupancyConcretizerINS7_34FractionOffsetOccupancyConcretizerINS_8FractionImLm1ELm1EEELln1EEEEELb1EEENS_9Iterators16numeric_iteratorIllPlEEZN8rajaperf4apps12INTSC_HEXHEX17runHipVariantImplILm64EEEvNSM_9VariantIDEEUllE2_lNS_4expt15ForallParamPackIJEEES6_SA_TnNSt9enable_ifIXaasr3std10is_base_ofINS5_10DirectBaseET4_EE5valuegtsrT5_10block_sizeLi0EEmE4typeELm64EEEvT1_T0_T2_T3_,comdat
.Lfunc_end5:
	.size	_ZN4RAJA6policy3hip4impl18forallp_hip_kernelINS1_8hip_execINS_17iteration_mapping6DirectENS_3hip11IndexGlobalILNS_9named_dimE0ELi64ELi0EEENS7_40AvoidDeviceMaxThreadOccupancyConcretizerINS7_34FractionOffsetOccupancyConcretizerINS_8FractionImLm1ELm1EEELln1EEEEELb1EEENS_9Iterators16numeric_iteratorIllPlEEZN8rajaperf4apps12INTSC_HEXHEX17runHipVariantImplILm64EEEvNSM_9VariantIDEEUllE2_lNS_4expt15ForallParamPackIJEEES6_SA_TnNSt9enable_ifIXaasr3std10is_base_ofINS5_10DirectBaseET4_EE5valuegtsrT5_10block_sizeLi0EEmE4typeELm64EEEvT1_T0_T2_T3_, .Lfunc_end5-_ZN4RAJA6policy3hip4impl18forallp_hip_kernelINS1_8hip_execINS_17iteration_mapping6DirectENS_3hip11IndexGlobalILNS_9named_dimE0ELi64ELi0EEENS7_40AvoidDeviceMaxThreadOccupancyConcretizerINS7_34FractionOffsetOccupancyConcretizerINS_8FractionImLm1ELm1EEELln1EEEEELb1EEENS_9Iterators16numeric_iteratorIllPlEEZN8rajaperf4apps12INTSC_HEXHEX17runHipVariantImplILm64EEEvNSM_9VariantIDEEUllE2_lNS_4expt15ForallParamPackIJEEES6_SA_TnNSt9enable_ifIXaasr3std10is_base_ofINS5_10DirectBaseET4_EE5valuegtsrT5_10block_sizeLi0EEmE4typeELm64EEEvT1_T0_T2_T3_
                                        ; -- End function
	.set _ZN4RAJA6policy3hip4impl18forallp_hip_kernelINS1_8hip_execINS_17iteration_mapping6DirectENS_3hip11IndexGlobalILNS_9named_dimE0ELi64ELi0EEENS7_40AvoidDeviceMaxThreadOccupancyConcretizerINS7_34FractionOffsetOccupancyConcretizerINS_8FractionImLm1ELm1EEELln1EEEEELb1EEENS_9Iterators16numeric_iteratorIllPlEEZN8rajaperf4apps12INTSC_HEXHEX17runHipVariantImplILm64EEEvNSM_9VariantIDEEUllE2_lNS_4expt15ForallParamPackIJEEES6_SA_TnNSt9enable_ifIXaasr3std10is_base_ofINS5_10DirectBaseET4_EE5valuegtsrT5_10block_sizeLi0EEmE4typeELm64EEEvT1_T0_T2_T3_.num_vgpr, 10
	.set _ZN4RAJA6policy3hip4impl18forallp_hip_kernelINS1_8hip_execINS_17iteration_mapping6DirectENS_3hip11IndexGlobalILNS_9named_dimE0ELi64ELi0EEENS7_40AvoidDeviceMaxThreadOccupancyConcretizerINS7_34FractionOffsetOccupancyConcretizerINS_8FractionImLm1ELm1EEELln1EEEEELb1EEENS_9Iterators16numeric_iteratorIllPlEEZN8rajaperf4apps12INTSC_HEXHEX17runHipVariantImplILm64EEEvNSM_9VariantIDEEUllE2_lNS_4expt15ForallParamPackIJEEES6_SA_TnNSt9enable_ifIXaasr3std10is_base_ofINS5_10DirectBaseET4_EE5valuegtsrT5_10block_sizeLi0EEmE4typeELm64EEEvT1_T0_T2_T3_.num_agpr, 0
	.set _ZN4RAJA6policy3hip4impl18forallp_hip_kernelINS1_8hip_execINS_17iteration_mapping6DirectENS_3hip11IndexGlobalILNS_9named_dimE0ELi64ELi0EEENS7_40AvoidDeviceMaxThreadOccupancyConcretizerINS7_34FractionOffsetOccupancyConcretizerINS_8FractionImLm1ELm1EEELln1EEEEELb1EEENS_9Iterators16numeric_iteratorIllPlEEZN8rajaperf4apps12INTSC_HEXHEX17runHipVariantImplILm64EEEvNSM_9VariantIDEEUllE2_lNS_4expt15ForallParamPackIJEEES6_SA_TnNSt9enable_ifIXaasr3std10is_base_ofINS5_10DirectBaseET4_EE5valuegtsrT5_10block_sizeLi0EEmE4typeELm64EEEvT1_T0_T2_T3_.numbered_sgpr, 8
	.set _ZN4RAJA6policy3hip4impl18forallp_hip_kernelINS1_8hip_execINS_17iteration_mapping6DirectENS_3hip11IndexGlobalILNS_9named_dimE0ELi64ELi0EEENS7_40AvoidDeviceMaxThreadOccupancyConcretizerINS7_34FractionOffsetOccupancyConcretizerINS_8FractionImLm1ELm1EEELln1EEEEELb1EEENS_9Iterators16numeric_iteratorIllPlEEZN8rajaperf4apps12INTSC_HEXHEX17runHipVariantImplILm64EEEvNSM_9VariantIDEEUllE2_lNS_4expt15ForallParamPackIJEEES6_SA_TnNSt9enable_ifIXaasr3std10is_base_ofINS5_10DirectBaseET4_EE5valuegtsrT5_10block_sizeLi0EEmE4typeELm64EEEvT1_T0_T2_T3_.num_named_barrier, 0
	.set _ZN4RAJA6policy3hip4impl18forallp_hip_kernelINS1_8hip_execINS_17iteration_mapping6DirectENS_3hip11IndexGlobalILNS_9named_dimE0ELi64ELi0EEENS7_40AvoidDeviceMaxThreadOccupancyConcretizerINS7_34FractionOffsetOccupancyConcretizerINS_8FractionImLm1ELm1EEELln1EEEEELb1EEENS_9Iterators16numeric_iteratorIllPlEEZN8rajaperf4apps12INTSC_HEXHEX17runHipVariantImplILm64EEEvNSM_9VariantIDEEUllE2_lNS_4expt15ForallParamPackIJEEES6_SA_TnNSt9enable_ifIXaasr3std10is_base_ofINS5_10DirectBaseET4_EE5valuegtsrT5_10block_sizeLi0EEmE4typeELm64EEEvT1_T0_T2_T3_.private_seg_size, 0
	.set _ZN4RAJA6policy3hip4impl18forallp_hip_kernelINS1_8hip_execINS_17iteration_mapping6DirectENS_3hip11IndexGlobalILNS_9named_dimE0ELi64ELi0EEENS7_40AvoidDeviceMaxThreadOccupancyConcretizerINS7_34FractionOffsetOccupancyConcretizerINS_8FractionImLm1ELm1EEELln1EEEEELb1EEENS_9Iterators16numeric_iteratorIllPlEEZN8rajaperf4apps12INTSC_HEXHEX17runHipVariantImplILm64EEEvNSM_9VariantIDEEUllE2_lNS_4expt15ForallParamPackIJEEES6_SA_TnNSt9enable_ifIXaasr3std10is_base_ofINS5_10DirectBaseET4_EE5valuegtsrT5_10block_sizeLi0EEmE4typeELm64EEEvT1_T0_T2_T3_.uses_vcc, 1
	.set _ZN4RAJA6policy3hip4impl18forallp_hip_kernelINS1_8hip_execINS_17iteration_mapping6DirectENS_3hip11IndexGlobalILNS_9named_dimE0ELi64ELi0EEENS7_40AvoidDeviceMaxThreadOccupancyConcretizerINS7_34FractionOffsetOccupancyConcretizerINS_8FractionImLm1ELm1EEELln1EEEEELb1EEENS_9Iterators16numeric_iteratorIllPlEEZN8rajaperf4apps12INTSC_HEXHEX17runHipVariantImplILm64EEEvNSM_9VariantIDEEUllE2_lNS_4expt15ForallParamPackIJEEES6_SA_TnNSt9enable_ifIXaasr3std10is_base_ofINS5_10DirectBaseET4_EE5valuegtsrT5_10block_sizeLi0EEmE4typeELm64EEEvT1_T0_T2_T3_.uses_flat_scratch, 0
	.set _ZN4RAJA6policy3hip4impl18forallp_hip_kernelINS1_8hip_execINS_17iteration_mapping6DirectENS_3hip11IndexGlobalILNS_9named_dimE0ELi64ELi0EEENS7_40AvoidDeviceMaxThreadOccupancyConcretizerINS7_34FractionOffsetOccupancyConcretizerINS_8FractionImLm1ELm1EEELln1EEEEELb1EEENS_9Iterators16numeric_iteratorIllPlEEZN8rajaperf4apps12INTSC_HEXHEX17runHipVariantImplILm64EEEvNSM_9VariantIDEEUllE2_lNS_4expt15ForallParamPackIJEEES6_SA_TnNSt9enable_ifIXaasr3std10is_base_ofINS5_10DirectBaseET4_EE5valuegtsrT5_10block_sizeLi0EEmE4typeELm64EEEvT1_T0_T2_T3_.has_dyn_sized_stack, 0
	.set _ZN4RAJA6policy3hip4impl18forallp_hip_kernelINS1_8hip_execINS_17iteration_mapping6DirectENS_3hip11IndexGlobalILNS_9named_dimE0ELi64ELi0EEENS7_40AvoidDeviceMaxThreadOccupancyConcretizerINS7_34FractionOffsetOccupancyConcretizerINS_8FractionImLm1ELm1EEELln1EEEEELb1EEENS_9Iterators16numeric_iteratorIllPlEEZN8rajaperf4apps12INTSC_HEXHEX17runHipVariantImplILm64EEEvNSM_9VariantIDEEUllE2_lNS_4expt15ForallParamPackIJEEES6_SA_TnNSt9enable_ifIXaasr3std10is_base_ofINS5_10DirectBaseET4_EE5valuegtsrT5_10block_sizeLi0EEmE4typeELm64EEEvT1_T0_T2_T3_.has_recursion, 0
	.set _ZN4RAJA6policy3hip4impl18forallp_hip_kernelINS1_8hip_execINS_17iteration_mapping6DirectENS_3hip11IndexGlobalILNS_9named_dimE0ELi64ELi0EEENS7_40AvoidDeviceMaxThreadOccupancyConcretizerINS7_34FractionOffsetOccupancyConcretizerINS_8FractionImLm1ELm1EEELln1EEEEELb1EEENS_9Iterators16numeric_iteratorIllPlEEZN8rajaperf4apps12INTSC_HEXHEX17runHipVariantImplILm64EEEvNSM_9VariantIDEEUllE2_lNS_4expt15ForallParamPackIJEEES6_SA_TnNSt9enable_ifIXaasr3std10is_base_ofINS5_10DirectBaseET4_EE5valuegtsrT5_10block_sizeLi0EEmE4typeELm64EEEvT1_T0_T2_T3_.has_indirect_call, 0
	.section	.AMDGPU.csdata,"",@progbits
; Kernel info:
; codeLenInByte = 1616
; TotalNumSgprs: 10
; NumVgprs: 10
; ScratchSize: 0
; MemoryBound: 1
; FloatMode: 240
; IeeeMode: 1
; LDSByteSize: 0 bytes/workgroup (compile time only)
; SGPRBlocks: 0
; VGPRBlocks: 1
; NumSGPRsForWavesPerEU: 10
; NumVGPRsForWavesPerEU: 10
; Occupancy: 16
; WaveLimiterHint : 1
; COMPUTE_PGM_RSRC2:SCRATCH_EN: 0
; COMPUTE_PGM_RSRC2:USER_SGPR: 6
; COMPUTE_PGM_RSRC2:TRAP_HANDLER: 0
; COMPUTE_PGM_RSRC2:TGID_X_EN: 1
; COMPUTE_PGM_RSRC2:TGID_Y_EN: 0
; COMPUTE_PGM_RSRC2:TGID_Z_EN: 0
; COMPUTE_PGM_RSRC2:TIDIG_COMP_CNT: 0
	.section	.AMDGPU.gpr_maximums,"",@progbits
	.set amdgpu.max_num_vgpr, 0
	.set amdgpu.max_num_agpr, 0
	.set amdgpu.max_num_sgpr, 0
	.section	.AMDGPU.csdata,"",@progbits
	.type	__const._ZN8rajaperf14hex_intsc_subzEPKdS1_iiRdS2_S2_S2_.cyc_nod,@object ; @__const._ZN8rajaperf14hex_intsc_subzEPKdS1_iiRdS2_S2_S2_.cyc_nod
	.section	.rodata,"a",@progbits
	.p2align	4, 0x0
__const._ZN8rajaperf14hex_intsc_subzEPKdS1_iiRdS2_S2_S2_.cyc_nod:
	.long	1                               ; 0x1
	.long	5                               ; 0x5
	;; [unrolled: 1-line block ×7, first 2 shown]
	.size	__const._ZN8rajaperf14hex_intsc_subzEPKdS1_iiRdS2_S2_S2_.cyc_nod, 28

	.type	__const._ZN8rajaperf14hex_intsc_subzEPKdS1_iiRdS2_S2_S2_.vert_cyc,@object ; @__const._ZN8rajaperf14hex_intsc_subzEPKdS1_iiRdS2_S2_S2_.vert_cyc
	.p2align	4, 0x0
__const._ZN8rajaperf14hex_intsc_subzEPKdS1_iiRdS2_S2_S2_.vert_cyc:
	.long	1                               ; 0x1
	.long	3                               ; 0x3
	;; [unrolled: 1-line block ×6, first 2 shown]
	.size	__const._ZN8rajaperf14hex_intsc_subzEPKdS1_iiRdS2_S2_S2_.vert_cyc, 24

	.type	__hip_cuid_3153b8689a59ddae,@object ; @__hip_cuid_3153b8689a59ddae
	.section	.bss,"aw",@nobits
	.globl	__hip_cuid_3153b8689a59ddae
__hip_cuid_3153b8689a59ddae:
	.byte	0                               ; 0x0
	.size	__hip_cuid_3153b8689a59ddae, 1

	.ident	"AMD clang version 22.0.0git (https://github.com/RadeonOpenCompute/llvm-project roc-7.2.4 26084 f58b06dce1f9c15707c5f808fd002e18c2accf7e)"
	.section	".note.GNU-stack","",@progbits
	.addrsig
	.addrsig_sym __hip_cuid_3153b8689a59ddae
	.amdgpu_metadata
---
amdhsa.kernels:
  - .args:
      - .address_space:  global
        .offset:         0
        .size:           8
        .value_kind:     global_buffer
      - .address_space:  global
        .offset:         8
        .size:           8
        .value_kind:     global_buffer
      - .offset:         16
        .size:           8
        .value_kind:     by_value
      - .address_space:  global
        .offset:         24
        .size:           8
        .value_kind:     global_buffer
    .group_segment_fixed_size: 128
    .kernarg_segment_align: 8
    .kernarg_segment_size: 32
    .language:       OpenCL C
    .language_version:
      - 2
      - 0
    .max_flat_workgroup_size: 64
    .name:           _ZN8rajaperf4apps16intsc_hexhex_hipILm64EEEvPdS2_mS2_
    .private_segment_fixed_size: 112
    .sgpr_count:     57
    .sgpr_spill_count: 0
    .symbol:         _ZN8rajaperf4apps16intsc_hexhex_hipILm64EEEvPdS2_mS2_.kd
    .uniform_work_group_size: 1
    .uses_dynamic_stack: false
    .vgpr_count:     155
    .vgpr_spill_count: 0
    .wavefront_size: 32
    .workgroup_processor_mode: 1
  - .args:
      - .address_space:  global
        .offset:         0
        .size:           8
        .value_kind:     global_buffer
      - .offset:         8
        .size:           8
        .value_kind:     by_value
      - .address_space:  global
        .offset:         16
        .size:           8
        .value_kind:     global_buffer
    .group_segment_fixed_size: 0
    .kernarg_segment_align: 8
    .kernarg_segment_size: 24
    .language:       OpenCL C
    .language_version:
      - 2
      - 0
    .max_flat_workgroup_size: 1024
    .name:           _ZN8rajaperf4apps32intsc_hexhex_hip_fixup_vv_64to72ILm64EEEvPdmS2_
    .private_segment_fixed_size: 0
    .sgpr_count:     7
    .sgpr_spill_count: 0
    .symbol:         _ZN8rajaperf4apps32intsc_hexhex_hip_fixup_vv_64to72ILm64EEEvPdmS2_.kd
    .uniform_work_group_size: 1
    .uses_dynamic_stack: false
    .vgpr_count:     10
    .vgpr_spill_count: 0
    .wavefront_size: 32
    .workgroup_processor_mode: 1
  - .args:
      - .offset:         0
        .size:           8
        .value_kind:     by_value
      - .offset:         8
        .size:           8
        .value_kind:     by_value
      - .offset:         16
        .size:           32
        .value_kind:     by_value
    .group_segment_fixed_size: 128
    .kernarg_segment_align: 8
    .kernarg_segment_size: 48
    .language:       OpenCL C
    .language_version:
      - 2
      - 0
    .max_flat_workgroup_size: 64
    .name:           _ZN8rajaperf17lambda_hip_forallILm64EZNS_4apps12INTSC_HEXHEX17runHipVariantImplILm64EEEvNS_9VariantIDEEUllE_EEvllT0_
    .private_segment_fixed_size: 112
    .sgpr_count:     55
    .sgpr_spill_count: 0
    .symbol:         _ZN8rajaperf17lambda_hip_forallILm64EZNS_4apps12INTSC_HEXHEX17runHipVariantImplILm64EEEvNS_9VariantIDEEUllE_EEvllT0_.kd
    .uniform_work_group_size: 1
    .uses_dynamic_stack: false
    .vgpr_count:     156
    .vgpr_spill_count: 0
    .wavefront_size: 32
    .workgroup_processor_mode: 1
  - .args:
      - .offset:         0
        .size:           8
        .value_kind:     by_value
      - .offset:         8
        .size:           8
        .value_kind:     by_value
      - .offset:         16
        .size:           24
        .value_kind:     by_value
    .group_segment_fixed_size: 0
    .kernarg_segment_align: 8
    .kernarg_segment_size: 40
    .language:       OpenCL C
    .language_version:
      - 2
      - 0
    .max_flat_workgroup_size: 64
    .name:           _ZN8rajaperf17lambda_hip_forallILm64EZNS_4apps12INTSC_HEXHEX17runHipVariantImplILm64EEEvNS_9VariantIDEEUllE0_EEvllT0_
    .private_segment_fixed_size: 0
    .sgpr_count:     14
    .sgpr_spill_count: 0
    .symbol:         _ZN8rajaperf17lambda_hip_forallILm64EZNS_4apps12INTSC_HEXHEX17runHipVariantImplILm64EEEvNS_9VariantIDEEUllE0_EEvllT0_.kd
    .uniform_work_group_size: 1
    .uses_dynamic_stack: false
    .vgpr_count:     10
    .vgpr_spill_count: 0
    .wavefront_size: 32
    .workgroup_processor_mode: 1
  - .args:
      - .offset:         0
        .size:           32
        .value_kind:     by_value
      - .offset:         32
        .size:           8
        .value_kind:     by_value
      - .offset:         40
        .size:           8
        .value_kind:     by_value
      - .offset:         48
        .size:           1
        .value_kind:     by_value
    .group_segment_fixed_size: 128
    .kernarg_segment_align: 8
    .kernarg_segment_size: 52
    .language:       OpenCL C
    .language_version:
      - 2
      - 0
    .max_flat_workgroup_size: 64
    .name:           _ZN4RAJA6policy3hip4impl18forallp_hip_kernelINS1_8hip_execINS_17iteration_mapping6DirectENS_3hip11IndexGlobalILNS_9named_dimE0ELi64ELi0EEENS7_40AvoidDeviceMaxThreadOccupancyConcretizerINS7_34FractionOffsetOccupancyConcretizerINS_8FractionImLm1ELm1EEELln1EEEEELb1EEENS_9Iterators16numeric_iteratorIllPlEEZN8rajaperf4apps12INTSC_HEXHEX17runHipVariantImplILm64EEEvNSM_9VariantIDEEUllE1_lNS_4expt15ForallParamPackIJEEES6_SA_TnNSt9enable_ifIXaasr3std10is_base_ofINS5_10DirectBaseET4_EE5valuegtsrT5_10block_sizeLi0EEmE4typeELm64EEEvT1_T0_T2_T3_
    .private_segment_fixed_size: 112
    .sgpr_count:     55
    .sgpr_spill_count: 0
    .symbol:         _ZN4RAJA6policy3hip4impl18forallp_hip_kernelINS1_8hip_execINS_17iteration_mapping6DirectENS_3hip11IndexGlobalILNS_9named_dimE0ELi64ELi0EEENS7_40AvoidDeviceMaxThreadOccupancyConcretizerINS7_34FractionOffsetOccupancyConcretizerINS_8FractionImLm1ELm1EEELln1EEEEELb1EEENS_9Iterators16numeric_iteratorIllPlEEZN8rajaperf4apps12INTSC_HEXHEX17runHipVariantImplILm64EEEvNSM_9VariantIDEEUllE1_lNS_4expt15ForallParamPackIJEEES6_SA_TnNSt9enable_ifIXaasr3std10is_base_ofINS5_10DirectBaseET4_EE5valuegtsrT5_10block_sizeLi0EEmE4typeELm64EEEvT1_T0_T2_T3_.kd
    .uniform_work_group_size: 1
    .uses_dynamic_stack: false
    .vgpr_count:     156
    .vgpr_spill_count: 0
    .wavefront_size: 32
    .workgroup_processor_mode: 1
  - .args:
      - .offset:         0
        .size:           24
        .value_kind:     by_value
      - .offset:         24
        .size:           8
        .value_kind:     by_value
      - .offset:         32
        .size:           8
        .value_kind:     by_value
      - .offset:         40
        .size:           1
        .value_kind:     by_value
    .group_segment_fixed_size: 0
    .kernarg_segment_align: 8
    .kernarg_segment_size: 44
    .language:       OpenCL C
    .language_version:
      - 2
      - 0
    .max_flat_workgroup_size: 64
    .name:           _ZN4RAJA6policy3hip4impl18forallp_hip_kernelINS1_8hip_execINS_17iteration_mapping6DirectENS_3hip11IndexGlobalILNS_9named_dimE0ELi64ELi0EEENS7_40AvoidDeviceMaxThreadOccupancyConcretizerINS7_34FractionOffsetOccupancyConcretizerINS_8FractionImLm1ELm1EEELln1EEEEELb1EEENS_9Iterators16numeric_iteratorIllPlEEZN8rajaperf4apps12INTSC_HEXHEX17runHipVariantImplILm64EEEvNSM_9VariantIDEEUllE2_lNS_4expt15ForallParamPackIJEEES6_SA_TnNSt9enable_ifIXaasr3std10is_base_ofINS5_10DirectBaseET4_EE5valuegtsrT5_10block_sizeLi0EEmE4typeELm64EEEvT1_T0_T2_T3_
    .private_segment_fixed_size: 0
    .sgpr_count:     10
    .sgpr_spill_count: 0
    .symbol:         _ZN4RAJA6policy3hip4impl18forallp_hip_kernelINS1_8hip_execINS_17iteration_mapping6DirectENS_3hip11IndexGlobalILNS_9named_dimE0ELi64ELi0EEENS7_40AvoidDeviceMaxThreadOccupancyConcretizerINS7_34FractionOffsetOccupancyConcretizerINS_8FractionImLm1ELm1EEELln1EEEEELb1EEENS_9Iterators16numeric_iteratorIllPlEEZN8rajaperf4apps12INTSC_HEXHEX17runHipVariantImplILm64EEEvNSM_9VariantIDEEUllE2_lNS_4expt15ForallParamPackIJEEES6_SA_TnNSt9enable_ifIXaasr3std10is_base_ofINS5_10DirectBaseET4_EE5valuegtsrT5_10block_sizeLi0EEmE4typeELm64EEEvT1_T0_T2_T3_.kd
    .uniform_work_group_size: 1
    .uses_dynamic_stack: false
    .vgpr_count:     10
    .vgpr_spill_count: 0
    .wavefront_size: 32
    .workgroup_processor_mode: 1
amdhsa.target:   amdgcn-amd-amdhsa--gfx1030
amdhsa.version:
  - 1
  - 2
...

	.end_amdgpu_metadata
